;; amdgpu-corpus repo=ROCm/rocSPARSE kind=compiled arch=gfx90a opt=O3
	.text
	.amdgcn_target "amdgcn-amd-amdhsa--gfx90a"
	.amdhsa_code_object_version 6
	.section	.text._ZN9rocsparseL25kernel_set_identity_arrayILj1024EiiEEvT1_PT0_,"axG",@progbits,_ZN9rocsparseL25kernel_set_identity_arrayILj1024EiiEEvT1_PT0_,comdat
	.globl	_ZN9rocsparseL25kernel_set_identity_arrayILj1024EiiEEvT1_PT0_ ; -- Begin function _ZN9rocsparseL25kernel_set_identity_arrayILj1024EiiEEvT1_PT0_
	.p2align	8
	.type	_ZN9rocsparseL25kernel_set_identity_arrayILj1024EiiEEvT1_PT0_,@function
_ZN9rocsparseL25kernel_set_identity_arrayILj1024EiiEEvT1_PT0_: ; @_ZN9rocsparseL25kernel_set_identity_arrayILj1024EiiEEvT1_PT0_
; %bb.0:
	s_load_dword s0, s[4:5], 0x1c
	s_load_dword s1, s[4:5], 0x0
	s_waitcnt lgkmcnt(0)
	s_and_b32 s0, s0, 0xffff
	s_mul_i32 s6, s6, s0
	v_add_u32_e32 v0, s6, v0
	v_cmp_gt_i32_e32 vcc, s1, v0
	s_and_saveexec_b64 s[0:1], vcc
	s_cbranch_execz .LBB0_2
; %bb.1:
	s_load_dwordx2 s[0:1], s[4:5], 0x8
	v_ashrrev_i32_e32 v1, 31, v0
	v_lshlrev_b64 v[0:1], 2, v[0:1]
	s_waitcnt lgkmcnt(0)
	v_mov_b32_e32 v2, s1
	v_add_co_u32_e32 v0, vcc, s0, v0
	v_addc_co_u32_e32 v1, vcc, v2, v1, vcc
	v_mov_b32_e32 v2, 1
	global_store_dword v[0:1], v2, off
.LBB0_2:
	s_endpgm
	.section	.rodata,"a",@progbits
	.p2align	6, 0x0
	.amdhsa_kernel _ZN9rocsparseL25kernel_set_identity_arrayILj1024EiiEEvT1_PT0_
		.amdhsa_group_segment_fixed_size 0
		.amdhsa_private_segment_fixed_size 0
		.amdhsa_kernarg_size 272
		.amdhsa_user_sgpr_count 6
		.amdhsa_user_sgpr_private_segment_buffer 1
		.amdhsa_user_sgpr_dispatch_ptr 0
		.amdhsa_user_sgpr_queue_ptr 0
		.amdhsa_user_sgpr_kernarg_segment_ptr 1
		.amdhsa_user_sgpr_dispatch_id 0
		.amdhsa_user_sgpr_flat_scratch_init 0
		.amdhsa_user_sgpr_kernarg_preload_length 0
		.amdhsa_user_sgpr_kernarg_preload_offset 0
		.amdhsa_user_sgpr_private_segment_size 0
		.amdhsa_uses_dynamic_stack 0
		.amdhsa_system_sgpr_private_segment_wavefront_offset 0
		.amdhsa_system_sgpr_workgroup_id_x 1
		.amdhsa_system_sgpr_workgroup_id_y 0
		.amdhsa_system_sgpr_workgroup_id_z 0
		.amdhsa_system_sgpr_workgroup_info 0
		.amdhsa_system_vgpr_workitem_id 0
		.amdhsa_next_free_vgpr 3
		.amdhsa_next_free_sgpr 7
		.amdhsa_accum_offset 4
		.amdhsa_reserve_vcc 1
		.amdhsa_reserve_flat_scratch 0
		.amdhsa_float_round_mode_32 0
		.amdhsa_float_round_mode_16_64 0
		.amdhsa_float_denorm_mode_32 3
		.amdhsa_float_denorm_mode_16_64 3
		.amdhsa_dx10_clamp 1
		.amdhsa_ieee_mode 1
		.amdhsa_fp16_overflow 0
		.amdhsa_tg_split 0
		.amdhsa_exception_fp_ieee_invalid_op 0
		.amdhsa_exception_fp_denorm_src 0
		.amdhsa_exception_fp_ieee_div_zero 0
		.amdhsa_exception_fp_ieee_overflow 0
		.amdhsa_exception_fp_ieee_underflow 0
		.amdhsa_exception_fp_ieee_inexact 0
		.amdhsa_exception_int_div_zero 0
	.end_amdhsa_kernel
	.section	.text._ZN9rocsparseL25kernel_set_identity_arrayILj1024EiiEEvT1_PT0_,"axG",@progbits,_ZN9rocsparseL25kernel_set_identity_arrayILj1024EiiEEvT1_PT0_,comdat
.Lfunc_end0:
	.size	_ZN9rocsparseL25kernel_set_identity_arrayILj1024EiiEEvT1_PT0_, .Lfunc_end0-_ZN9rocsparseL25kernel_set_identity_arrayILj1024EiiEEvT1_PT0_
                                        ; -- End function
	.section	.AMDGPU.csdata,"",@progbits
; Kernel info:
; codeLenInByte = 100
; NumSgprs: 11
; NumVgprs: 3
; NumAgprs: 0
; TotalNumVgprs: 3
; ScratchSize: 0
; MemoryBound: 0
; FloatMode: 240
; IeeeMode: 1
; LDSByteSize: 0 bytes/workgroup (compile time only)
; SGPRBlocks: 1
; VGPRBlocks: 0
; NumSGPRsForWavesPerEU: 11
; NumVGPRsForWavesPerEU: 3
; AccumOffset: 4
; Occupancy: 8
; WaveLimiterHint : 0
; COMPUTE_PGM_RSRC2:SCRATCH_EN: 0
; COMPUTE_PGM_RSRC2:USER_SGPR: 6
; COMPUTE_PGM_RSRC2:TRAP_HANDLER: 0
; COMPUTE_PGM_RSRC2:TGID_X_EN: 1
; COMPUTE_PGM_RSRC2:TGID_Y_EN: 0
; COMPUTE_PGM_RSRC2:TGID_Z_EN: 0
; COMPUTE_PGM_RSRC2:TIDIG_COMP_CNT: 0
; COMPUTE_PGM_RSRC3_GFX90A:ACCUM_OFFSET: 0
; COMPUTE_PGM_RSRC3_GFX90A:TG_SPLIT: 0
	.section	.text._ZN9rocsparseL25kernel_get_permuted_arrayILj1024EiiEEvT1_PKT0_PS2_PKS1_,"axG",@progbits,_ZN9rocsparseL25kernel_get_permuted_arrayILj1024EiiEEvT1_PKT0_PS2_PKS1_,comdat
	.globl	_ZN9rocsparseL25kernel_get_permuted_arrayILj1024EiiEEvT1_PKT0_PS2_PKS1_ ; -- Begin function _ZN9rocsparseL25kernel_get_permuted_arrayILj1024EiiEEvT1_PKT0_PS2_PKS1_
	.p2align	8
	.type	_ZN9rocsparseL25kernel_get_permuted_arrayILj1024EiiEEvT1_PKT0_PS2_PKS1_,@function
_ZN9rocsparseL25kernel_get_permuted_arrayILj1024EiiEEvT1_PKT0_PS2_PKS1_: ; @_ZN9rocsparseL25kernel_get_permuted_arrayILj1024EiiEEvT1_PKT0_PS2_PKS1_
; %bb.0:
	s_load_dword s0, s[4:5], 0x2c
	s_load_dword s1, s[4:5], 0x0
	s_waitcnt lgkmcnt(0)
	s_and_b32 s0, s0, 0xffff
	s_mul_i32 s6, s6, s0
	v_add_u32_e32 v0, s6, v0
	v_cmp_gt_i32_e32 vcc, s1, v0
	s_and_saveexec_b64 s[0:1], vcc
	s_cbranch_execz .LBB1_2
; %bb.1:
	s_load_dwordx2 s[0:1], s[4:5], 0x18
	v_ashrrev_i32_e32 v1, 31, v0
	v_lshlrev_b64 v[0:1], 2, v[0:1]
	s_waitcnt lgkmcnt(0)
	v_mov_b32_e32 v3, s1
	v_add_co_u32_e32 v2, vcc, s0, v0
	v_addc_co_u32_e32 v3, vcc, v3, v1, vcc
	global_load_dword v2, v[2:3], off
	s_load_dwordx4 s[0:3], s[4:5], 0x8
	s_waitcnt lgkmcnt(0)
	v_mov_b32_e32 v4, s1
	s_waitcnt vmcnt(0)
	v_ashrrev_i32_e32 v3, 31, v2
	v_lshlrev_b64 v[2:3], 2, v[2:3]
	v_add_co_u32_e32 v2, vcc, s0, v2
	v_addc_co_u32_e32 v3, vcc, v4, v3, vcc
	global_load_dword v2, v[2:3], off
	v_mov_b32_e32 v3, s3
	v_add_co_u32_e32 v0, vcc, s2, v0
	v_addc_co_u32_e32 v1, vcc, v3, v1, vcc
	s_waitcnt vmcnt(0)
	global_store_dword v[0:1], v2, off
.LBB1_2:
	s_endpgm
	.section	.rodata,"a",@progbits
	.p2align	6, 0x0
	.amdhsa_kernel _ZN9rocsparseL25kernel_get_permuted_arrayILj1024EiiEEvT1_PKT0_PS2_PKS1_
		.amdhsa_group_segment_fixed_size 0
		.amdhsa_private_segment_fixed_size 0
		.amdhsa_kernarg_size 288
		.amdhsa_user_sgpr_count 6
		.amdhsa_user_sgpr_private_segment_buffer 1
		.amdhsa_user_sgpr_dispatch_ptr 0
		.amdhsa_user_sgpr_queue_ptr 0
		.amdhsa_user_sgpr_kernarg_segment_ptr 1
		.amdhsa_user_sgpr_dispatch_id 0
		.amdhsa_user_sgpr_flat_scratch_init 0
		.amdhsa_user_sgpr_kernarg_preload_length 0
		.amdhsa_user_sgpr_kernarg_preload_offset 0
		.amdhsa_user_sgpr_private_segment_size 0
		.amdhsa_uses_dynamic_stack 0
		.amdhsa_system_sgpr_private_segment_wavefront_offset 0
		.amdhsa_system_sgpr_workgroup_id_x 1
		.amdhsa_system_sgpr_workgroup_id_y 0
		.amdhsa_system_sgpr_workgroup_id_z 0
		.amdhsa_system_sgpr_workgroup_info 0
		.amdhsa_system_vgpr_workitem_id 0
		.amdhsa_next_free_vgpr 5
		.amdhsa_next_free_sgpr 7
		.amdhsa_accum_offset 8
		.amdhsa_reserve_vcc 1
		.amdhsa_reserve_flat_scratch 0
		.amdhsa_float_round_mode_32 0
		.amdhsa_float_round_mode_16_64 0
		.amdhsa_float_denorm_mode_32 3
		.amdhsa_float_denorm_mode_16_64 3
		.amdhsa_dx10_clamp 1
		.amdhsa_ieee_mode 1
		.amdhsa_fp16_overflow 0
		.amdhsa_tg_split 0
		.amdhsa_exception_fp_ieee_invalid_op 0
		.amdhsa_exception_fp_denorm_src 0
		.amdhsa_exception_fp_ieee_div_zero 0
		.amdhsa_exception_fp_ieee_overflow 0
		.amdhsa_exception_fp_ieee_underflow 0
		.amdhsa_exception_fp_ieee_inexact 0
		.amdhsa_exception_int_div_zero 0
	.end_amdhsa_kernel
	.section	.text._ZN9rocsparseL25kernel_get_permuted_arrayILj1024EiiEEvT1_PKT0_PS2_PKS1_,"axG",@progbits,_ZN9rocsparseL25kernel_get_permuted_arrayILj1024EiiEEvT1_PKT0_PS2_PKS1_,comdat
.Lfunc_end1:
	.size	_ZN9rocsparseL25kernel_get_permuted_arrayILj1024EiiEEvT1_PKT0_PS2_PKS1_, .Lfunc_end1-_ZN9rocsparseL25kernel_get_permuted_arrayILj1024EiiEEvT1_PKT0_PS2_PKS1_
                                        ; -- End function
	.section	.AMDGPU.csdata,"",@progbits
; Kernel info:
; codeLenInByte = 168
; NumSgprs: 11
; NumVgprs: 5
; NumAgprs: 0
; TotalNumVgprs: 5
; ScratchSize: 0
; MemoryBound: 0
; FloatMode: 240
; IeeeMode: 1
; LDSByteSize: 0 bytes/workgroup (compile time only)
; SGPRBlocks: 1
; VGPRBlocks: 0
; NumSGPRsForWavesPerEU: 11
; NumVGPRsForWavesPerEU: 5
; AccumOffset: 8
; Occupancy: 8
; WaveLimiterHint : 1
; COMPUTE_PGM_RSRC2:SCRATCH_EN: 0
; COMPUTE_PGM_RSRC2:USER_SGPR: 6
; COMPUTE_PGM_RSRC2:TRAP_HANDLER: 0
; COMPUTE_PGM_RSRC2:TGID_X_EN: 1
; COMPUTE_PGM_RSRC2:TGID_Y_EN: 0
; COMPUTE_PGM_RSRC2:TGID_Z_EN: 0
; COMPUTE_PGM_RSRC2:TIDIG_COMP_CNT: 0
; COMPUTE_PGM_RSRC3_GFX90A:ACCUM_OFFSET: 1
; COMPUTE_PGM_RSRC3_GFX90A:TG_SPLIT: 0
	.section	.text._ZN9rocsparseL25kernel_set_permuted_arrayILj1024EiiEEvT1_PT0_PKS2_PKS1_,"axG",@progbits,_ZN9rocsparseL25kernel_set_permuted_arrayILj1024EiiEEvT1_PT0_PKS2_PKS1_,comdat
	.globl	_ZN9rocsparseL25kernel_set_permuted_arrayILj1024EiiEEvT1_PT0_PKS2_PKS1_ ; -- Begin function _ZN9rocsparseL25kernel_set_permuted_arrayILj1024EiiEEvT1_PT0_PKS2_PKS1_
	.p2align	8
	.type	_ZN9rocsparseL25kernel_set_permuted_arrayILj1024EiiEEvT1_PT0_PKS2_PKS1_,@function
_ZN9rocsparseL25kernel_set_permuted_arrayILj1024EiiEEvT1_PT0_PKS2_PKS1_: ; @_ZN9rocsparseL25kernel_set_permuted_arrayILj1024EiiEEvT1_PT0_PKS2_PKS1_
; %bb.0:
	s_load_dword s0, s[4:5], 0x2c
	s_load_dword s1, s[4:5], 0x0
	s_waitcnt lgkmcnt(0)
	s_and_b32 s0, s0, 0xffff
	s_mul_i32 s6, s6, s0
	v_add_u32_e32 v0, s6, v0
	v_cmp_gt_i32_e32 vcc, s1, v0
	s_and_saveexec_b64 s[0:1], vcc
	s_cbranch_execz .LBB2_2
; %bb.1:
	s_load_dwordx2 s[6:7], s[4:5], 0x18
	s_load_dwordx4 s[0:3], s[4:5], 0x8
	v_ashrrev_i32_e32 v1, 31, v0
	v_lshlrev_b64 v[0:1], 2, v[0:1]
	s_waitcnt lgkmcnt(0)
	v_mov_b32_e32 v3, s7
	v_add_co_u32_e32 v2, vcc, s6, v0
	v_addc_co_u32_e32 v3, vcc, v3, v1, vcc
	global_load_dword v2, v[2:3], off
	v_mov_b32_e32 v3, s3
	v_add_co_u32_e32 v0, vcc, s2, v0
	v_addc_co_u32_e32 v1, vcc, v3, v1, vcc
	global_load_dword v4, v[0:1], off
	v_mov_b32_e32 v5, s1
	s_waitcnt vmcnt(1)
	v_ashrrev_i32_e32 v3, 31, v2
	v_lshlrev_b64 v[0:1], 2, v[2:3]
	v_add_co_u32_e32 v0, vcc, s0, v0
	v_addc_co_u32_e32 v1, vcc, v5, v1, vcc
	s_waitcnt vmcnt(0)
	global_store_dword v[0:1], v4, off
.LBB2_2:
	s_endpgm
	.section	.rodata,"a",@progbits
	.p2align	6, 0x0
	.amdhsa_kernel _ZN9rocsparseL25kernel_set_permuted_arrayILj1024EiiEEvT1_PT0_PKS2_PKS1_
		.amdhsa_group_segment_fixed_size 0
		.amdhsa_private_segment_fixed_size 0
		.amdhsa_kernarg_size 288
		.amdhsa_user_sgpr_count 6
		.amdhsa_user_sgpr_private_segment_buffer 1
		.amdhsa_user_sgpr_dispatch_ptr 0
		.amdhsa_user_sgpr_queue_ptr 0
		.amdhsa_user_sgpr_kernarg_segment_ptr 1
		.amdhsa_user_sgpr_dispatch_id 0
		.amdhsa_user_sgpr_flat_scratch_init 0
		.amdhsa_user_sgpr_kernarg_preload_length 0
		.amdhsa_user_sgpr_kernarg_preload_offset 0
		.amdhsa_user_sgpr_private_segment_size 0
		.amdhsa_uses_dynamic_stack 0
		.amdhsa_system_sgpr_private_segment_wavefront_offset 0
		.amdhsa_system_sgpr_workgroup_id_x 1
		.amdhsa_system_sgpr_workgroup_id_y 0
		.amdhsa_system_sgpr_workgroup_id_z 0
		.amdhsa_system_sgpr_workgroup_info 0
		.amdhsa_system_vgpr_workitem_id 0
		.amdhsa_next_free_vgpr 6
		.amdhsa_next_free_sgpr 8
		.amdhsa_accum_offset 8
		.amdhsa_reserve_vcc 1
		.amdhsa_reserve_flat_scratch 0
		.amdhsa_float_round_mode_32 0
		.amdhsa_float_round_mode_16_64 0
		.amdhsa_float_denorm_mode_32 3
		.amdhsa_float_denorm_mode_16_64 3
		.amdhsa_dx10_clamp 1
		.amdhsa_ieee_mode 1
		.amdhsa_fp16_overflow 0
		.amdhsa_tg_split 0
		.amdhsa_exception_fp_ieee_invalid_op 0
		.amdhsa_exception_fp_denorm_src 0
		.amdhsa_exception_fp_ieee_div_zero 0
		.amdhsa_exception_fp_ieee_overflow 0
		.amdhsa_exception_fp_ieee_underflow 0
		.amdhsa_exception_fp_ieee_inexact 0
		.amdhsa_exception_int_div_zero 0
	.end_amdhsa_kernel
	.section	.text._ZN9rocsparseL25kernel_set_permuted_arrayILj1024EiiEEvT1_PT0_PKS2_PKS1_,"axG",@progbits,_ZN9rocsparseL25kernel_set_permuted_arrayILj1024EiiEEvT1_PT0_PKS2_PKS1_,comdat
.Lfunc_end2:
	.size	_ZN9rocsparseL25kernel_set_permuted_arrayILj1024EiiEEvT1_PT0_PKS2_PKS1_, .Lfunc_end2-_ZN9rocsparseL25kernel_set_permuted_arrayILj1024EiiEEvT1_PT0_PKS2_PKS1_
                                        ; -- End function
	.section	.AMDGPU.csdata,"",@progbits
; Kernel info:
; codeLenInByte = 164
; NumSgprs: 12
; NumVgprs: 6
; NumAgprs: 0
; TotalNumVgprs: 6
; ScratchSize: 0
; MemoryBound: 0
; FloatMode: 240
; IeeeMode: 1
; LDSByteSize: 0 bytes/workgroup (compile time only)
; SGPRBlocks: 1
; VGPRBlocks: 0
; NumSGPRsForWavesPerEU: 12
; NumVGPRsForWavesPerEU: 6
; AccumOffset: 8
; Occupancy: 8
; WaveLimiterHint : 1
; COMPUTE_PGM_RSRC2:SCRATCH_EN: 0
; COMPUTE_PGM_RSRC2:USER_SGPR: 6
; COMPUTE_PGM_RSRC2:TRAP_HANDLER: 0
; COMPUTE_PGM_RSRC2:TGID_X_EN: 1
; COMPUTE_PGM_RSRC2:TGID_Y_EN: 0
; COMPUTE_PGM_RSRC2:TGID_Z_EN: 0
; COMPUTE_PGM_RSRC2:TIDIG_COMP_CNT: 0
; COMPUTE_PGM_RSRC3_GFX90A:ACCUM_OFFSET: 1
; COMPUTE_PGM_RSRC3_GFX90A:TG_SPLIT: 0
	.section	.text._ZN9rocsparseL25kernel_set_identity_arrayILj1024EfiEEvT1_PT0_,"axG",@progbits,_ZN9rocsparseL25kernel_set_identity_arrayILj1024EfiEEvT1_PT0_,comdat
	.globl	_ZN9rocsparseL25kernel_set_identity_arrayILj1024EfiEEvT1_PT0_ ; -- Begin function _ZN9rocsparseL25kernel_set_identity_arrayILj1024EfiEEvT1_PT0_
	.p2align	8
	.type	_ZN9rocsparseL25kernel_set_identity_arrayILj1024EfiEEvT1_PT0_,@function
_ZN9rocsparseL25kernel_set_identity_arrayILj1024EfiEEvT1_PT0_: ; @_ZN9rocsparseL25kernel_set_identity_arrayILj1024EfiEEvT1_PT0_
; %bb.0:
	s_load_dword s0, s[4:5], 0x1c
	s_load_dword s1, s[4:5], 0x0
	s_waitcnt lgkmcnt(0)
	s_and_b32 s0, s0, 0xffff
	s_mul_i32 s6, s6, s0
	v_add_u32_e32 v0, s6, v0
	v_cmp_gt_i32_e32 vcc, s1, v0
	s_and_saveexec_b64 s[0:1], vcc
	s_cbranch_execz .LBB3_2
; %bb.1:
	s_load_dwordx2 s[0:1], s[4:5], 0x8
	v_ashrrev_i32_e32 v1, 31, v0
	v_lshlrev_b64 v[0:1], 2, v[0:1]
	s_waitcnt lgkmcnt(0)
	v_mov_b32_e32 v2, s1
	v_add_co_u32_e32 v0, vcc, s0, v0
	v_addc_co_u32_e32 v1, vcc, v2, v1, vcc
	v_mov_b32_e32 v2, 1.0
	global_store_dword v[0:1], v2, off
.LBB3_2:
	s_endpgm
	.section	.rodata,"a",@progbits
	.p2align	6, 0x0
	.amdhsa_kernel _ZN9rocsparseL25kernel_set_identity_arrayILj1024EfiEEvT1_PT0_
		.amdhsa_group_segment_fixed_size 0
		.amdhsa_private_segment_fixed_size 0
		.amdhsa_kernarg_size 272
		.amdhsa_user_sgpr_count 6
		.amdhsa_user_sgpr_private_segment_buffer 1
		.amdhsa_user_sgpr_dispatch_ptr 0
		.amdhsa_user_sgpr_queue_ptr 0
		.amdhsa_user_sgpr_kernarg_segment_ptr 1
		.amdhsa_user_sgpr_dispatch_id 0
		.amdhsa_user_sgpr_flat_scratch_init 0
		.amdhsa_user_sgpr_kernarg_preload_length 0
		.amdhsa_user_sgpr_kernarg_preload_offset 0
		.amdhsa_user_sgpr_private_segment_size 0
		.amdhsa_uses_dynamic_stack 0
		.amdhsa_system_sgpr_private_segment_wavefront_offset 0
		.amdhsa_system_sgpr_workgroup_id_x 1
		.amdhsa_system_sgpr_workgroup_id_y 0
		.amdhsa_system_sgpr_workgroup_id_z 0
		.amdhsa_system_sgpr_workgroup_info 0
		.amdhsa_system_vgpr_workitem_id 0
		.amdhsa_next_free_vgpr 3
		.amdhsa_next_free_sgpr 7
		.amdhsa_accum_offset 4
		.amdhsa_reserve_vcc 1
		.amdhsa_reserve_flat_scratch 0
		.amdhsa_float_round_mode_32 0
		.amdhsa_float_round_mode_16_64 0
		.amdhsa_float_denorm_mode_32 3
		.amdhsa_float_denorm_mode_16_64 3
		.amdhsa_dx10_clamp 1
		.amdhsa_ieee_mode 1
		.amdhsa_fp16_overflow 0
		.amdhsa_tg_split 0
		.amdhsa_exception_fp_ieee_invalid_op 0
		.amdhsa_exception_fp_denorm_src 0
		.amdhsa_exception_fp_ieee_div_zero 0
		.amdhsa_exception_fp_ieee_overflow 0
		.amdhsa_exception_fp_ieee_underflow 0
		.amdhsa_exception_fp_ieee_inexact 0
		.amdhsa_exception_int_div_zero 0
	.end_amdhsa_kernel
	.section	.text._ZN9rocsparseL25kernel_set_identity_arrayILj1024EfiEEvT1_PT0_,"axG",@progbits,_ZN9rocsparseL25kernel_set_identity_arrayILj1024EfiEEvT1_PT0_,comdat
.Lfunc_end3:
	.size	_ZN9rocsparseL25kernel_set_identity_arrayILj1024EfiEEvT1_PT0_, .Lfunc_end3-_ZN9rocsparseL25kernel_set_identity_arrayILj1024EfiEEvT1_PT0_
                                        ; -- End function
	.section	.AMDGPU.csdata,"",@progbits
; Kernel info:
; codeLenInByte = 100
; NumSgprs: 11
; NumVgprs: 3
; NumAgprs: 0
; TotalNumVgprs: 3
; ScratchSize: 0
; MemoryBound: 0
; FloatMode: 240
; IeeeMode: 1
; LDSByteSize: 0 bytes/workgroup (compile time only)
; SGPRBlocks: 1
; VGPRBlocks: 0
; NumSGPRsForWavesPerEU: 11
; NumVGPRsForWavesPerEU: 3
; AccumOffset: 4
; Occupancy: 8
; WaveLimiterHint : 0
; COMPUTE_PGM_RSRC2:SCRATCH_EN: 0
; COMPUTE_PGM_RSRC2:USER_SGPR: 6
; COMPUTE_PGM_RSRC2:TRAP_HANDLER: 0
; COMPUTE_PGM_RSRC2:TGID_X_EN: 1
; COMPUTE_PGM_RSRC2:TGID_Y_EN: 0
; COMPUTE_PGM_RSRC2:TGID_Z_EN: 0
; COMPUTE_PGM_RSRC2:TIDIG_COMP_CNT: 0
; COMPUTE_PGM_RSRC3_GFX90A:ACCUM_OFFSET: 0
; COMPUTE_PGM_RSRC3_GFX90A:TG_SPLIT: 0
	.section	.text._ZN9rocsparseL25kernel_get_permuted_arrayILj1024EfiEEvT1_PKT0_PS2_PKS1_,"axG",@progbits,_ZN9rocsparseL25kernel_get_permuted_arrayILj1024EfiEEvT1_PKT0_PS2_PKS1_,comdat
	.globl	_ZN9rocsparseL25kernel_get_permuted_arrayILj1024EfiEEvT1_PKT0_PS2_PKS1_ ; -- Begin function _ZN9rocsparseL25kernel_get_permuted_arrayILj1024EfiEEvT1_PKT0_PS2_PKS1_
	.p2align	8
	.type	_ZN9rocsparseL25kernel_get_permuted_arrayILj1024EfiEEvT1_PKT0_PS2_PKS1_,@function
_ZN9rocsparseL25kernel_get_permuted_arrayILj1024EfiEEvT1_PKT0_PS2_PKS1_: ; @_ZN9rocsparseL25kernel_get_permuted_arrayILj1024EfiEEvT1_PKT0_PS2_PKS1_
; %bb.0:
	s_load_dword s0, s[4:5], 0x2c
	s_load_dword s1, s[4:5], 0x0
	s_waitcnt lgkmcnt(0)
	s_and_b32 s0, s0, 0xffff
	s_mul_i32 s6, s6, s0
	v_add_u32_e32 v0, s6, v0
	v_cmp_gt_i32_e32 vcc, s1, v0
	s_and_saveexec_b64 s[0:1], vcc
	s_cbranch_execz .LBB4_2
; %bb.1:
	s_load_dwordx2 s[0:1], s[4:5], 0x18
	v_ashrrev_i32_e32 v1, 31, v0
	v_lshlrev_b64 v[0:1], 2, v[0:1]
	s_waitcnt lgkmcnt(0)
	v_mov_b32_e32 v3, s1
	v_add_co_u32_e32 v2, vcc, s0, v0
	v_addc_co_u32_e32 v3, vcc, v3, v1, vcc
	global_load_dword v2, v[2:3], off
	s_load_dwordx4 s[0:3], s[4:5], 0x8
	s_waitcnt lgkmcnt(0)
	v_mov_b32_e32 v4, s1
	s_waitcnt vmcnt(0)
	v_ashrrev_i32_e32 v3, 31, v2
	v_lshlrev_b64 v[2:3], 2, v[2:3]
	v_add_co_u32_e32 v2, vcc, s0, v2
	v_addc_co_u32_e32 v3, vcc, v4, v3, vcc
	global_load_dword v2, v[2:3], off
	v_mov_b32_e32 v3, s3
	v_add_co_u32_e32 v0, vcc, s2, v0
	v_addc_co_u32_e32 v1, vcc, v3, v1, vcc
	s_waitcnt vmcnt(0)
	global_store_dword v[0:1], v2, off
.LBB4_2:
	s_endpgm
	.section	.rodata,"a",@progbits
	.p2align	6, 0x0
	.amdhsa_kernel _ZN9rocsparseL25kernel_get_permuted_arrayILj1024EfiEEvT1_PKT0_PS2_PKS1_
		.amdhsa_group_segment_fixed_size 0
		.amdhsa_private_segment_fixed_size 0
		.amdhsa_kernarg_size 288
		.amdhsa_user_sgpr_count 6
		.amdhsa_user_sgpr_private_segment_buffer 1
		.amdhsa_user_sgpr_dispatch_ptr 0
		.amdhsa_user_sgpr_queue_ptr 0
		.amdhsa_user_sgpr_kernarg_segment_ptr 1
		.amdhsa_user_sgpr_dispatch_id 0
		.amdhsa_user_sgpr_flat_scratch_init 0
		.amdhsa_user_sgpr_kernarg_preload_length 0
		.amdhsa_user_sgpr_kernarg_preload_offset 0
		.amdhsa_user_sgpr_private_segment_size 0
		.amdhsa_uses_dynamic_stack 0
		.amdhsa_system_sgpr_private_segment_wavefront_offset 0
		.amdhsa_system_sgpr_workgroup_id_x 1
		.amdhsa_system_sgpr_workgroup_id_y 0
		.amdhsa_system_sgpr_workgroup_id_z 0
		.amdhsa_system_sgpr_workgroup_info 0
		.amdhsa_system_vgpr_workitem_id 0
		.amdhsa_next_free_vgpr 5
		.amdhsa_next_free_sgpr 7
		.amdhsa_accum_offset 8
		.amdhsa_reserve_vcc 1
		.amdhsa_reserve_flat_scratch 0
		.amdhsa_float_round_mode_32 0
		.amdhsa_float_round_mode_16_64 0
		.amdhsa_float_denorm_mode_32 3
		.amdhsa_float_denorm_mode_16_64 3
		.amdhsa_dx10_clamp 1
		.amdhsa_ieee_mode 1
		.amdhsa_fp16_overflow 0
		.amdhsa_tg_split 0
		.amdhsa_exception_fp_ieee_invalid_op 0
		.amdhsa_exception_fp_denorm_src 0
		.amdhsa_exception_fp_ieee_div_zero 0
		.amdhsa_exception_fp_ieee_overflow 0
		.amdhsa_exception_fp_ieee_underflow 0
		.amdhsa_exception_fp_ieee_inexact 0
		.amdhsa_exception_int_div_zero 0
	.end_amdhsa_kernel
	.section	.text._ZN9rocsparseL25kernel_get_permuted_arrayILj1024EfiEEvT1_PKT0_PS2_PKS1_,"axG",@progbits,_ZN9rocsparseL25kernel_get_permuted_arrayILj1024EfiEEvT1_PKT0_PS2_PKS1_,comdat
.Lfunc_end4:
	.size	_ZN9rocsparseL25kernel_get_permuted_arrayILj1024EfiEEvT1_PKT0_PS2_PKS1_, .Lfunc_end4-_ZN9rocsparseL25kernel_get_permuted_arrayILj1024EfiEEvT1_PKT0_PS2_PKS1_
                                        ; -- End function
	.section	.AMDGPU.csdata,"",@progbits
; Kernel info:
; codeLenInByte = 168
; NumSgprs: 11
; NumVgprs: 5
; NumAgprs: 0
; TotalNumVgprs: 5
; ScratchSize: 0
; MemoryBound: 0
; FloatMode: 240
; IeeeMode: 1
; LDSByteSize: 0 bytes/workgroup (compile time only)
; SGPRBlocks: 1
; VGPRBlocks: 0
; NumSGPRsForWavesPerEU: 11
; NumVGPRsForWavesPerEU: 5
; AccumOffset: 8
; Occupancy: 8
; WaveLimiterHint : 1
; COMPUTE_PGM_RSRC2:SCRATCH_EN: 0
; COMPUTE_PGM_RSRC2:USER_SGPR: 6
; COMPUTE_PGM_RSRC2:TRAP_HANDLER: 0
; COMPUTE_PGM_RSRC2:TGID_X_EN: 1
; COMPUTE_PGM_RSRC2:TGID_Y_EN: 0
; COMPUTE_PGM_RSRC2:TGID_Z_EN: 0
; COMPUTE_PGM_RSRC2:TIDIG_COMP_CNT: 0
; COMPUTE_PGM_RSRC3_GFX90A:ACCUM_OFFSET: 1
; COMPUTE_PGM_RSRC3_GFX90A:TG_SPLIT: 0
	.section	.text._ZN9rocsparseL25kernel_set_permuted_arrayILj1024EfiEEvT1_PT0_PKS2_PKS1_,"axG",@progbits,_ZN9rocsparseL25kernel_set_permuted_arrayILj1024EfiEEvT1_PT0_PKS2_PKS1_,comdat
	.globl	_ZN9rocsparseL25kernel_set_permuted_arrayILj1024EfiEEvT1_PT0_PKS2_PKS1_ ; -- Begin function _ZN9rocsparseL25kernel_set_permuted_arrayILj1024EfiEEvT1_PT0_PKS2_PKS1_
	.p2align	8
	.type	_ZN9rocsparseL25kernel_set_permuted_arrayILj1024EfiEEvT1_PT0_PKS2_PKS1_,@function
_ZN9rocsparseL25kernel_set_permuted_arrayILj1024EfiEEvT1_PT0_PKS2_PKS1_: ; @_ZN9rocsparseL25kernel_set_permuted_arrayILj1024EfiEEvT1_PT0_PKS2_PKS1_
; %bb.0:
	s_load_dword s0, s[4:5], 0x2c
	s_load_dword s1, s[4:5], 0x0
	s_waitcnt lgkmcnt(0)
	s_and_b32 s0, s0, 0xffff
	s_mul_i32 s6, s6, s0
	v_add_u32_e32 v0, s6, v0
	v_cmp_gt_i32_e32 vcc, s1, v0
	s_and_saveexec_b64 s[0:1], vcc
	s_cbranch_execz .LBB5_2
; %bb.1:
	s_load_dwordx2 s[6:7], s[4:5], 0x18
	s_load_dwordx4 s[0:3], s[4:5], 0x8
	v_ashrrev_i32_e32 v1, 31, v0
	v_lshlrev_b64 v[0:1], 2, v[0:1]
	s_waitcnt lgkmcnt(0)
	v_mov_b32_e32 v3, s7
	v_add_co_u32_e32 v2, vcc, s6, v0
	v_addc_co_u32_e32 v3, vcc, v3, v1, vcc
	global_load_dword v2, v[2:3], off
	v_mov_b32_e32 v3, s3
	v_add_co_u32_e32 v0, vcc, s2, v0
	v_addc_co_u32_e32 v1, vcc, v3, v1, vcc
	global_load_dword v4, v[0:1], off
	v_mov_b32_e32 v5, s1
	s_waitcnt vmcnt(1)
	v_ashrrev_i32_e32 v3, 31, v2
	v_lshlrev_b64 v[0:1], 2, v[2:3]
	v_add_co_u32_e32 v0, vcc, s0, v0
	v_addc_co_u32_e32 v1, vcc, v5, v1, vcc
	s_waitcnt vmcnt(0)
	global_store_dword v[0:1], v4, off
.LBB5_2:
	s_endpgm
	.section	.rodata,"a",@progbits
	.p2align	6, 0x0
	.amdhsa_kernel _ZN9rocsparseL25kernel_set_permuted_arrayILj1024EfiEEvT1_PT0_PKS2_PKS1_
		.amdhsa_group_segment_fixed_size 0
		.amdhsa_private_segment_fixed_size 0
		.amdhsa_kernarg_size 288
		.amdhsa_user_sgpr_count 6
		.amdhsa_user_sgpr_private_segment_buffer 1
		.amdhsa_user_sgpr_dispatch_ptr 0
		.amdhsa_user_sgpr_queue_ptr 0
		.amdhsa_user_sgpr_kernarg_segment_ptr 1
		.amdhsa_user_sgpr_dispatch_id 0
		.amdhsa_user_sgpr_flat_scratch_init 0
		.amdhsa_user_sgpr_kernarg_preload_length 0
		.amdhsa_user_sgpr_kernarg_preload_offset 0
		.amdhsa_user_sgpr_private_segment_size 0
		.amdhsa_uses_dynamic_stack 0
		.amdhsa_system_sgpr_private_segment_wavefront_offset 0
		.amdhsa_system_sgpr_workgroup_id_x 1
		.amdhsa_system_sgpr_workgroup_id_y 0
		.amdhsa_system_sgpr_workgroup_id_z 0
		.amdhsa_system_sgpr_workgroup_info 0
		.amdhsa_system_vgpr_workitem_id 0
		.amdhsa_next_free_vgpr 6
		.amdhsa_next_free_sgpr 8
		.amdhsa_accum_offset 8
		.amdhsa_reserve_vcc 1
		.amdhsa_reserve_flat_scratch 0
		.amdhsa_float_round_mode_32 0
		.amdhsa_float_round_mode_16_64 0
		.amdhsa_float_denorm_mode_32 3
		.amdhsa_float_denorm_mode_16_64 3
		.amdhsa_dx10_clamp 1
		.amdhsa_ieee_mode 1
		.amdhsa_fp16_overflow 0
		.amdhsa_tg_split 0
		.amdhsa_exception_fp_ieee_invalid_op 0
		.amdhsa_exception_fp_denorm_src 0
		.amdhsa_exception_fp_ieee_div_zero 0
		.amdhsa_exception_fp_ieee_overflow 0
		.amdhsa_exception_fp_ieee_underflow 0
		.amdhsa_exception_fp_ieee_inexact 0
		.amdhsa_exception_int_div_zero 0
	.end_amdhsa_kernel
	.section	.text._ZN9rocsparseL25kernel_set_permuted_arrayILj1024EfiEEvT1_PT0_PKS2_PKS1_,"axG",@progbits,_ZN9rocsparseL25kernel_set_permuted_arrayILj1024EfiEEvT1_PT0_PKS2_PKS1_,comdat
.Lfunc_end5:
	.size	_ZN9rocsparseL25kernel_set_permuted_arrayILj1024EfiEEvT1_PT0_PKS2_PKS1_, .Lfunc_end5-_ZN9rocsparseL25kernel_set_permuted_arrayILj1024EfiEEvT1_PT0_PKS2_PKS1_
                                        ; -- End function
	.section	.AMDGPU.csdata,"",@progbits
; Kernel info:
; codeLenInByte = 164
; NumSgprs: 12
; NumVgprs: 6
; NumAgprs: 0
; TotalNumVgprs: 6
; ScratchSize: 0
; MemoryBound: 0
; FloatMode: 240
; IeeeMode: 1
; LDSByteSize: 0 bytes/workgroup (compile time only)
; SGPRBlocks: 1
; VGPRBlocks: 0
; NumSGPRsForWavesPerEU: 12
; NumVGPRsForWavesPerEU: 6
; AccumOffset: 8
; Occupancy: 8
; WaveLimiterHint : 1
; COMPUTE_PGM_RSRC2:SCRATCH_EN: 0
; COMPUTE_PGM_RSRC2:USER_SGPR: 6
; COMPUTE_PGM_RSRC2:TRAP_HANDLER: 0
; COMPUTE_PGM_RSRC2:TGID_X_EN: 1
; COMPUTE_PGM_RSRC2:TGID_Y_EN: 0
; COMPUTE_PGM_RSRC2:TGID_Z_EN: 0
; COMPUTE_PGM_RSRC2:TIDIG_COMP_CNT: 0
; COMPUTE_PGM_RSRC3_GFX90A:ACCUM_OFFSET: 1
; COMPUTE_PGM_RSRC3_GFX90A:TG_SPLIT: 0
	.section	.text._ZN9rocsparseL25kernel_set_identity_arrayILj1024EdiEEvT1_PT0_,"axG",@progbits,_ZN9rocsparseL25kernel_set_identity_arrayILj1024EdiEEvT1_PT0_,comdat
	.globl	_ZN9rocsparseL25kernel_set_identity_arrayILj1024EdiEEvT1_PT0_ ; -- Begin function _ZN9rocsparseL25kernel_set_identity_arrayILj1024EdiEEvT1_PT0_
	.p2align	8
	.type	_ZN9rocsparseL25kernel_set_identity_arrayILj1024EdiEEvT1_PT0_,@function
_ZN9rocsparseL25kernel_set_identity_arrayILj1024EdiEEvT1_PT0_: ; @_ZN9rocsparseL25kernel_set_identity_arrayILj1024EdiEEvT1_PT0_
; %bb.0:
	s_load_dword s0, s[4:5], 0x1c
	s_load_dword s1, s[4:5], 0x0
	s_waitcnt lgkmcnt(0)
	s_and_b32 s0, s0, 0xffff
	s_mul_i32 s6, s6, s0
	v_add_u32_e32 v0, s6, v0
	v_cmp_gt_i32_e32 vcc, s1, v0
	s_and_saveexec_b64 s[0:1], vcc
	s_cbranch_execz .LBB6_2
; %bb.1:
	s_load_dwordx2 s[0:1], s[4:5], 0x8
	v_ashrrev_i32_e32 v1, 31, v0
	v_lshlrev_b64 v[0:1], 3, v[0:1]
	v_mov_b32_e32 v3, 0x3ff00000
	s_waitcnt lgkmcnt(0)
	v_mov_b32_e32 v2, s1
	v_add_co_u32_e32 v0, vcc, s0, v0
	v_addc_co_u32_e32 v1, vcc, v2, v1, vcc
	v_mov_b32_e32 v2, 0
	global_store_dwordx2 v[0:1], v[2:3], off
.LBB6_2:
	s_endpgm
	.section	.rodata,"a",@progbits
	.p2align	6, 0x0
	.amdhsa_kernel _ZN9rocsparseL25kernel_set_identity_arrayILj1024EdiEEvT1_PT0_
		.amdhsa_group_segment_fixed_size 0
		.amdhsa_private_segment_fixed_size 0
		.amdhsa_kernarg_size 272
		.amdhsa_user_sgpr_count 6
		.amdhsa_user_sgpr_private_segment_buffer 1
		.amdhsa_user_sgpr_dispatch_ptr 0
		.amdhsa_user_sgpr_queue_ptr 0
		.amdhsa_user_sgpr_kernarg_segment_ptr 1
		.amdhsa_user_sgpr_dispatch_id 0
		.amdhsa_user_sgpr_flat_scratch_init 0
		.amdhsa_user_sgpr_kernarg_preload_length 0
		.amdhsa_user_sgpr_kernarg_preload_offset 0
		.amdhsa_user_sgpr_private_segment_size 0
		.amdhsa_uses_dynamic_stack 0
		.amdhsa_system_sgpr_private_segment_wavefront_offset 0
		.amdhsa_system_sgpr_workgroup_id_x 1
		.amdhsa_system_sgpr_workgroup_id_y 0
		.amdhsa_system_sgpr_workgroup_id_z 0
		.amdhsa_system_sgpr_workgroup_info 0
		.amdhsa_system_vgpr_workitem_id 0
		.amdhsa_next_free_vgpr 4
		.amdhsa_next_free_sgpr 7
		.amdhsa_accum_offset 4
		.amdhsa_reserve_vcc 1
		.amdhsa_reserve_flat_scratch 0
		.amdhsa_float_round_mode_32 0
		.amdhsa_float_round_mode_16_64 0
		.amdhsa_float_denorm_mode_32 3
		.amdhsa_float_denorm_mode_16_64 3
		.amdhsa_dx10_clamp 1
		.amdhsa_ieee_mode 1
		.amdhsa_fp16_overflow 0
		.amdhsa_tg_split 0
		.amdhsa_exception_fp_ieee_invalid_op 0
		.amdhsa_exception_fp_denorm_src 0
		.amdhsa_exception_fp_ieee_div_zero 0
		.amdhsa_exception_fp_ieee_overflow 0
		.amdhsa_exception_fp_ieee_underflow 0
		.amdhsa_exception_fp_ieee_inexact 0
		.amdhsa_exception_int_div_zero 0
	.end_amdhsa_kernel
	.section	.text._ZN9rocsparseL25kernel_set_identity_arrayILj1024EdiEEvT1_PT0_,"axG",@progbits,_ZN9rocsparseL25kernel_set_identity_arrayILj1024EdiEEvT1_PT0_,comdat
.Lfunc_end6:
	.size	_ZN9rocsparseL25kernel_set_identity_arrayILj1024EdiEEvT1_PT0_, .Lfunc_end6-_ZN9rocsparseL25kernel_set_identity_arrayILj1024EdiEEvT1_PT0_
                                        ; -- End function
	.section	.AMDGPU.csdata,"",@progbits
; Kernel info:
; codeLenInByte = 108
; NumSgprs: 11
; NumVgprs: 4
; NumAgprs: 0
; TotalNumVgprs: 4
; ScratchSize: 0
; MemoryBound: 0
; FloatMode: 240
; IeeeMode: 1
; LDSByteSize: 0 bytes/workgroup (compile time only)
; SGPRBlocks: 1
; VGPRBlocks: 0
; NumSGPRsForWavesPerEU: 11
; NumVGPRsForWavesPerEU: 4
; AccumOffset: 4
; Occupancy: 8
; WaveLimiterHint : 0
; COMPUTE_PGM_RSRC2:SCRATCH_EN: 0
; COMPUTE_PGM_RSRC2:USER_SGPR: 6
; COMPUTE_PGM_RSRC2:TRAP_HANDLER: 0
; COMPUTE_PGM_RSRC2:TGID_X_EN: 1
; COMPUTE_PGM_RSRC2:TGID_Y_EN: 0
; COMPUTE_PGM_RSRC2:TGID_Z_EN: 0
; COMPUTE_PGM_RSRC2:TIDIG_COMP_CNT: 0
; COMPUTE_PGM_RSRC3_GFX90A:ACCUM_OFFSET: 0
; COMPUTE_PGM_RSRC3_GFX90A:TG_SPLIT: 0
	.section	.text._ZN9rocsparseL25kernel_get_permuted_arrayILj1024EdiEEvT1_PKT0_PS2_PKS1_,"axG",@progbits,_ZN9rocsparseL25kernel_get_permuted_arrayILj1024EdiEEvT1_PKT0_PS2_PKS1_,comdat
	.globl	_ZN9rocsparseL25kernel_get_permuted_arrayILj1024EdiEEvT1_PKT0_PS2_PKS1_ ; -- Begin function _ZN9rocsparseL25kernel_get_permuted_arrayILj1024EdiEEvT1_PKT0_PS2_PKS1_
	.p2align	8
	.type	_ZN9rocsparseL25kernel_get_permuted_arrayILj1024EdiEEvT1_PKT0_PS2_PKS1_,@function
_ZN9rocsparseL25kernel_get_permuted_arrayILj1024EdiEEvT1_PKT0_PS2_PKS1_: ; @_ZN9rocsparseL25kernel_get_permuted_arrayILj1024EdiEEvT1_PKT0_PS2_PKS1_
; %bb.0:
	s_load_dword s0, s[4:5], 0x2c
	s_load_dword s1, s[4:5], 0x0
	s_waitcnt lgkmcnt(0)
	s_and_b32 s0, s0, 0xffff
	s_mul_i32 s6, s6, s0
	v_add_u32_e32 v0, s6, v0
	v_cmp_gt_i32_e32 vcc, s1, v0
	s_and_saveexec_b64 s[0:1], vcc
	s_cbranch_execz .LBB7_2
; %bb.1:
	s_load_dwordx2 s[0:1], s[4:5], 0x18
	v_ashrrev_i32_e32 v1, 31, v0
	v_lshlrev_b64 v[2:3], 2, v[0:1]
	v_lshlrev_b64 v[0:1], 3, v[0:1]
	s_waitcnt lgkmcnt(0)
	v_mov_b32_e32 v4, s1
	v_add_co_u32_e32 v2, vcc, s0, v2
	v_addc_co_u32_e32 v3, vcc, v4, v3, vcc
	global_load_dword v2, v[2:3], off
	s_load_dwordx4 s[0:3], s[4:5], 0x8
	s_waitcnt lgkmcnt(0)
	v_mov_b32_e32 v4, s1
	s_waitcnt vmcnt(0)
	v_ashrrev_i32_e32 v3, 31, v2
	v_lshlrev_b64 v[2:3], 3, v[2:3]
	v_add_co_u32_e32 v2, vcc, s0, v2
	v_addc_co_u32_e32 v3, vcc, v4, v3, vcc
	global_load_dwordx2 v[2:3], v[2:3], off
	v_mov_b32_e32 v4, s3
	v_add_co_u32_e32 v0, vcc, s2, v0
	v_addc_co_u32_e32 v1, vcc, v4, v1, vcc
	s_waitcnt vmcnt(0)
	global_store_dwordx2 v[0:1], v[2:3], off
.LBB7_2:
	s_endpgm
	.section	.rodata,"a",@progbits
	.p2align	6, 0x0
	.amdhsa_kernel _ZN9rocsparseL25kernel_get_permuted_arrayILj1024EdiEEvT1_PKT0_PS2_PKS1_
		.amdhsa_group_segment_fixed_size 0
		.amdhsa_private_segment_fixed_size 0
		.amdhsa_kernarg_size 288
		.amdhsa_user_sgpr_count 6
		.amdhsa_user_sgpr_private_segment_buffer 1
		.amdhsa_user_sgpr_dispatch_ptr 0
		.amdhsa_user_sgpr_queue_ptr 0
		.amdhsa_user_sgpr_kernarg_segment_ptr 1
		.amdhsa_user_sgpr_dispatch_id 0
		.amdhsa_user_sgpr_flat_scratch_init 0
		.amdhsa_user_sgpr_kernarg_preload_length 0
		.amdhsa_user_sgpr_kernarg_preload_offset 0
		.amdhsa_user_sgpr_private_segment_size 0
		.amdhsa_uses_dynamic_stack 0
		.amdhsa_system_sgpr_private_segment_wavefront_offset 0
		.amdhsa_system_sgpr_workgroup_id_x 1
		.amdhsa_system_sgpr_workgroup_id_y 0
		.amdhsa_system_sgpr_workgroup_id_z 0
		.amdhsa_system_sgpr_workgroup_info 0
		.amdhsa_system_vgpr_workitem_id 0
		.amdhsa_next_free_vgpr 5
		.amdhsa_next_free_sgpr 7
		.amdhsa_accum_offset 8
		.amdhsa_reserve_vcc 1
		.amdhsa_reserve_flat_scratch 0
		.amdhsa_float_round_mode_32 0
		.amdhsa_float_round_mode_16_64 0
		.amdhsa_float_denorm_mode_32 3
		.amdhsa_float_denorm_mode_16_64 3
		.amdhsa_dx10_clamp 1
		.amdhsa_ieee_mode 1
		.amdhsa_fp16_overflow 0
		.amdhsa_tg_split 0
		.amdhsa_exception_fp_ieee_invalid_op 0
		.amdhsa_exception_fp_denorm_src 0
		.amdhsa_exception_fp_ieee_div_zero 0
		.amdhsa_exception_fp_ieee_overflow 0
		.amdhsa_exception_fp_ieee_underflow 0
		.amdhsa_exception_fp_ieee_inexact 0
		.amdhsa_exception_int_div_zero 0
	.end_amdhsa_kernel
	.section	.text._ZN9rocsparseL25kernel_get_permuted_arrayILj1024EdiEEvT1_PKT0_PS2_PKS1_,"axG",@progbits,_ZN9rocsparseL25kernel_get_permuted_arrayILj1024EdiEEvT1_PKT0_PS2_PKS1_,comdat
.Lfunc_end7:
	.size	_ZN9rocsparseL25kernel_get_permuted_arrayILj1024EdiEEvT1_PKT0_PS2_PKS1_, .Lfunc_end7-_ZN9rocsparseL25kernel_get_permuted_arrayILj1024EdiEEvT1_PKT0_PS2_PKS1_
                                        ; -- End function
	.section	.AMDGPU.csdata,"",@progbits
; Kernel info:
; codeLenInByte = 176
; NumSgprs: 11
; NumVgprs: 5
; NumAgprs: 0
; TotalNumVgprs: 5
; ScratchSize: 0
; MemoryBound: 0
; FloatMode: 240
; IeeeMode: 1
; LDSByteSize: 0 bytes/workgroup (compile time only)
; SGPRBlocks: 1
; VGPRBlocks: 0
; NumSGPRsForWavesPerEU: 11
; NumVGPRsForWavesPerEU: 5
; AccumOffset: 8
; Occupancy: 8
; WaveLimiterHint : 1
; COMPUTE_PGM_RSRC2:SCRATCH_EN: 0
; COMPUTE_PGM_RSRC2:USER_SGPR: 6
; COMPUTE_PGM_RSRC2:TRAP_HANDLER: 0
; COMPUTE_PGM_RSRC2:TGID_X_EN: 1
; COMPUTE_PGM_RSRC2:TGID_Y_EN: 0
; COMPUTE_PGM_RSRC2:TGID_Z_EN: 0
; COMPUTE_PGM_RSRC2:TIDIG_COMP_CNT: 0
; COMPUTE_PGM_RSRC3_GFX90A:ACCUM_OFFSET: 1
; COMPUTE_PGM_RSRC3_GFX90A:TG_SPLIT: 0
	.section	.text._ZN9rocsparseL25kernel_set_permuted_arrayILj1024EdiEEvT1_PT0_PKS2_PKS1_,"axG",@progbits,_ZN9rocsparseL25kernel_set_permuted_arrayILj1024EdiEEvT1_PT0_PKS2_PKS1_,comdat
	.globl	_ZN9rocsparseL25kernel_set_permuted_arrayILj1024EdiEEvT1_PT0_PKS2_PKS1_ ; -- Begin function _ZN9rocsparseL25kernel_set_permuted_arrayILj1024EdiEEvT1_PT0_PKS2_PKS1_
	.p2align	8
	.type	_ZN9rocsparseL25kernel_set_permuted_arrayILj1024EdiEEvT1_PT0_PKS2_PKS1_,@function
_ZN9rocsparseL25kernel_set_permuted_arrayILj1024EdiEEvT1_PT0_PKS2_PKS1_: ; @_ZN9rocsparseL25kernel_set_permuted_arrayILj1024EdiEEvT1_PT0_PKS2_PKS1_
; %bb.0:
	s_load_dword s0, s[4:5], 0x2c
	s_load_dword s1, s[4:5], 0x0
	s_waitcnt lgkmcnt(0)
	s_and_b32 s0, s0, 0xffff
	s_mul_i32 s6, s6, s0
	v_add_u32_e32 v0, s6, v0
	v_cmp_gt_i32_e32 vcc, s1, v0
	s_and_saveexec_b64 s[0:1], vcc
	s_cbranch_execz .LBB8_2
; %bb.1:
	s_load_dwordx2 s[6:7], s[4:5], 0x18
	s_load_dwordx4 s[0:3], s[4:5], 0x8
	v_ashrrev_i32_e32 v1, 31, v0
	v_lshlrev_b64 v[2:3], 3, v[0:1]
	v_lshlrev_b64 v[0:1], 2, v[0:1]
	s_waitcnt lgkmcnt(0)
	v_mov_b32_e32 v4, s7
	v_add_co_u32_e32 v0, vcc, s6, v0
	v_addc_co_u32_e32 v1, vcc, v4, v1, vcc
	global_load_dword v0, v[0:1], off
	v_mov_b32_e32 v1, s3
	v_add_co_u32_e32 v2, vcc, s2, v2
	v_addc_co_u32_e32 v3, vcc, v1, v3, vcc
	global_load_dwordx2 v[2:3], v[2:3], off
	v_mov_b32_e32 v4, s1
	s_waitcnt vmcnt(1)
	v_ashrrev_i32_e32 v1, 31, v0
	v_lshlrev_b64 v[0:1], 3, v[0:1]
	v_add_co_u32_e32 v0, vcc, s0, v0
	v_addc_co_u32_e32 v1, vcc, v4, v1, vcc
	s_waitcnt vmcnt(0)
	global_store_dwordx2 v[0:1], v[2:3], off
.LBB8_2:
	s_endpgm
	.section	.rodata,"a",@progbits
	.p2align	6, 0x0
	.amdhsa_kernel _ZN9rocsparseL25kernel_set_permuted_arrayILj1024EdiEEvT1_PT0_PKS2_PKS1_
		.amdhsa_group_segment_fixed_size 0
		.amdhsa_private_segment_fixed_size 0
		.amdhsa_kernarg_size 288
		.amdhsa_user_sgpr_count 6
		.amdhsa_user_sgpr_private_segment_buffer 1
		.amdhsa_user_sgpr_dispatch_ptr 0
		.amdhsa_user_sgpr_queue_ptr 0
		.amdhsa_user_sgpr_kernarg_segment_ptr 1
		.amdhsa_user_sgpr_dispatch_id 0
		.amdhsa_user_sgpr_flat_scratch_init 0
		.amdhsa_user_sgpr_kernarg_preload_length 0
		.amdhsa_user_sgpr_kernarg_preload_offset 0
		.amdhsa_user_sgpr_private_segment_size 0
		.amdhsa_uses_dynamic_stack 0
		.amdhsa_system_sgpr_private_segment_wavefront_offset 0
		.amdhsa_system_sgpr_workgroup_id_x 1
		.amdhsa_system_sgpr_workgroup_id_y 0
		.amdhsa_system_sgpr_workgroup_id_z 0
		.amdhsa_system_sgpr_workgroup_info 0
		.amdhsa_system_vgpr_workitem_id 0
		.amdhsa_next_free_vgpr 5
		.amdhsa_next_free_sgpr 8
		.amdhsa_accum_offset 8
		.amdhsa_reserve_vcc 1
		.amdhsa_reserve_flat_scratch 0
		.amdhsa_float_round_mode_32 0
		.amdhsa_float_round_mode_16_64 0
		.amdhsa_float_denorm_mode_32 3
		.amdhsa_float_denorm_mode_16_64 3
		.amdhsa_dx10_clamp 1
		.amdhsa_ieee_mode 1
		.amdhsa_fp16_overflow 0
		.amdhsa_tg_split 0
		.amdhsa_exception_fp_ieee_invalid_op 0
		.amdhsa_exception_fp_denorm_src 0
		.amdhsa_exception_fp_ieee_div_zero 0
		.amdhsa_exception_fp_ieee_overflow 0
		.amdhsa_exception_fp_ieee_underflow 0
		.amdhsa_exception_fp_ieee_inexact 0
		.amdhsa_exception_int_div_zero 0
	.end_amdhsa_kernel
	.section	.text._ZN9rocsparseL25kernel_set_permuted_arrayILj1024EdiEEvT1_PT0_PKS2_PKS1_,"axG",@progbits,_ZN9rocsparseL25kernel_set_permuted_arrayILj1024EdiEEvT1_PT0_PKS2_PKS1_,comdat
.Lfunc_end8:
	.size	_ZN9rocsparseL25kernel_set_permuted_arrayILj1024EdiEEvT1_PT0_PKS2_PKS1_, .Lfunc_end8-_ZN9rocsparseL25kernel_set_permuted_arrayILj1024EdiEEvT1_PT0_PKS2_PKS1_
                                        ; -- End function
	.section	.AMDGPU.csdata,"",@progbits
; Kernel info:
; codeLenInByte = 172
; NumSgprs: 12
; NumVgprs: 5
; NumAgprs: 0
; TotalNumVgprs: 5
; ScratchSize: 0
; MemoryBound: 0
; FloatMode: 240
; IeeeMode: 1
; LDSByteSize: 0 bytes/workgroup (compile time only)
; SGPRBlocks: 1
; VGPRBlocks: 0
; NumSGPRsForWavesPerEU: 12
; NumVGPRsForWavesPerEU: 5
; AccumOffset: 8
; Occupancy: 8
; WaveLimiterHint : 1
; COMPUTE_PGM_RSRC2:SCRATCH_EN: 0
; COMPUTE_PGM_RSRC2:USER_SGPR: 6
; COMPUTE_PGM_RSRC2:TRAP_HANDLER: 0
; COMPUTE_PGM_RSRC2:TGID_X_EN: 1
; COMPUTE_PGM_RSRC2:TGID_Y_EN: 0
; COMPUTE_PGM_RSRC2:TGID_Z_EN: 0
; COMPUTE_PGM_RSRC2:TIDIG_COMP_CNT: 0
; COMPUTE_PGM_RSRC3_GFX90A:ACCUM_OFFSET: 1
; COMPUTE_PGM_RSRC3_GFX90A:TG_SPLIT: 0
	.section	.text._ZN9rocsparseL25kernel_set_identity_arrayILj1024E21rocsparse_complex_numIfEiEEvT1_PT0_,"axG",@progbits,_ZN9rocsparseL25kernel_set_identity_arrayILj1024E21rocsparse_complex_numIfEiEEvT1_PT0_,comdat
	.globl	_ZN9rocsparseL25kernel_set_identity_arrayILj1024E21rocsparse_complex_numIfEiEEvT1_PT0_ ; -- Begin function _ZN9rocsparseL25kernel_set_identity_arrayILj1024E21rocsparse_complex_numIfEiEEvT1_PT0_
	.p2align	8
	.type	_ZN9rocsparseL25kernel_set_identity_arrayILj1024E21rocsparse_complex_numIfEiEEvT1_PT0_,@function
_ZN9rocsparseL25kernel_set_identity_arrayILj1024E21rocsparse_complex_numIfEiEEvT1_PT0_: ; @_ZN9rocsparseL25kernel_set_identity_arrayILj1024E21rocsparse_complex_numIfEiEEvT1_PT0_
; %bb.0:
	s_load_dword s0, s[4:5], 0x1c
	s_load_dword s1, s[4:5], 0x0
	s_waitcnt lgkmcnt(0)
	s_and_b32 s0, s0, 0xffff
	s_mul_i32 s6, s6, s0
	v_add_u32_e32 v0, s6, v0
	v_cmp_gt_i32_e32 vcc, s1, v0
	s_and_saveexec_b64 s[0:1], vcc
	s_cbranch_execz .LBB9_2
; %bb.1:
	s_load_dwordx2 s[0:1], s[4:5], 0x8
	v_ashrrev_i32_e32 v1, 31, v0
	v_lshlrev_b64 v[0:1], 3, v[0:1]
	v_mov_b32_e32 v3, 0
	s_waitcnt lgkmcnt(0)
	v_mov_b32_e32 v2, s1
	v_add_co_u32_e32 v0, vcc, s0, v0
	v_addc_co_u32_e32 v1, vcc, v2, v1, vcc
	v_mov_b32_e32 v2, 1.0
	global_store_dwordx2 v[0:1], v[2:3], off
.LBB9_2:
	s_endpgm
	.section	.rodata,"a",@progbits
	.p2align	6, 0x0
	.amdhsa_kernel _ZN9rocsparseL25kernel_set_identity_arrayILj1024E21rocsparse_complex_numIfEiEEvT1_PT0_
		.amdhsa_group_segment_fixed_size 0
		.amdhsa_private_segment_fixed_size 0
		.amdhsa_kernarg_size 272
		.amdhsa_user_sgpr_count 6
		.amdhsa_user_sgpr_private_segment_buffer 1
		.amdhsa_user_sgpr_dispatch_ptr 0
		.amdhsa_user_sgpr_queue_ptr 0
		.amdhsa_user_sgpr_kernarg_segment_ptr 1
		.amdhsa_user_sgpr_dispatch_id 0
		.amdhsa_user_sgpr_flat_scratch_init 0
		.amdhsa_user_sgpr_kernarg_preload_length 0
		.amdhsa_user_sgpr_kernarg_preload_offset 0
		.amdhsa_user_sgpr_private_segment_size 0
		.amdhsa_uses_dynamic_stack 0
		.amdhsa_system_sgpr_private_segment_wavefront_offset 0
		.amdhsa_system_sgpr_workgroup_id_x 1
		.amdhsa_system_sgpr_workgroup_id_y 0
		.amdhsa_system_sgpr_workgroup_id_z 0
		.amdhsa_system_sgpr_workgroup_info 0
		.amdhsa_system_vgpr_workitem_id 0
		.amdhsa_next_free_vgpr 4
		.amdhsa_next_free_sgpr 7
		.amdhsa_accum_offset 4
		.amdhsa_reserve_vcc 1
		.amdhsa_reserve_flat_scratch 0
		.amdhsa_float_round_mode_32 0
		.amdhsa_float_round_mode_16_64 0
		.amdhsa_float_denorm_mode_32 3
		.amdhsa_float_denorm_mode_16_64 3
		.amdhsa_dx10_clamp 1
		.amdhsa_ieee_mode 1
		.amdhsa_fp16_overflow 0
		.amdhsa_tg_split 0
		.amdhsa_exception_fp_ieee_invalid_op 0
		.amdhsa_exception_fp_denorm_src 0
		.amdhsa_exception_fp_ieee_div_zero 0
		.amdhsa_exception_fp_ieee_overflow 0
		.amdhsa_exception_fp_ieee_underflow 0
		.amdhsa_exception_fp_ieee_inexact 0
		.amdhsa_exception_int_div_zero 0
	.end_amdhsa_kernel
	.section	.text._ZN9rocsparseL25kernel_set_identity_arrayILj1024E21rocsparse_complex_numIfEiEEvT1_PT0_,"axG",@progbits,_ZN9rocsparseL25kernel_set_identity_arrayILj1024E21rocsparse_complex_numIfEiEEvT1_PT0_,comdat
.Lfunc_end9:
	.size	_ZN9rocsparseL25kernel_set_identity_arrayILj1024E21rocsparse_complex_numIfEiEEvT1_PT0_, .Lfunc_end9-_ZN9rocsparseL25kernel_set_identity_arrayILj1024E21rocsparse_complex_numIfEiEEvT1_PT0_
                                        ; -- End function
	.section	.AMDGPU.csdata,"",@progbits
; Kernel info:
; codeLenInByte = 104
; NumSgprs: 11
; NumVgprs: 4
; NumAgprs: 0
; TotalNumVgprs: 4
; ScratchSize: 0
; MemoryBound: 0
; FloatMode: 240
; IeeeMode: 1
; LDSByteSize: 0 bytes/workgroup (compile time only)
; SGPRBlocks: 1
; VGPRBlocks: 0
; NumSGPRsForWavesPerEU: 11
; NumVGPRsForWavesPerEU: 4
; AccumOffset: 4
; Occupancy: 8
; WaveLimiterHint : 0
; COMPUTE_PGM_RSRC2:SCRATCH_EN: 0
; COMPUTE_PGM_RSRC2:USER_SGPR: 6
; COMPUTE_PGM_RSRC2:TRAP_HANDLER: 0
; COMPUTE_PGM_RSRC2:TGID_X_EN: 1
; COMPUTE_PGM_RSRC2:TGID_Y_EN: 0
; COMPUTE_PGM_RSRC2:TGID_Z_EN: 0
; COMPUTE_PGM_RSRC2:TIDIG_COMP_CNT: 0
; COMPUTE_PGM_RSRC3_GFX90A:ACCUM_OFFSET: 0
; COMPUTE_PGM_RSRC3_GFX90A:TG_SPLIT: 0
	.section	.text._ZN9rocsparseL25kernel_get_permuted_arrayILj1024E21rocsparse_complex_numIfEiEEvT1_PKT0_PS4_PKS3_,"axG",@progbits,_ZN9rocsparseL25kernel_get_permuted_arrayILj1024E21rocsparse_complex_numIfEiEEvT1_PKT0_PS4_PKS3_,comdat
	.globl	_ZN9rocsparseL25kernel_get_permuted_arrayILj1024E21rocsparse_complex_numIfEiEEvT1_PKT0_PS4_PKS3_ ; -- Begin function _ZN9rocsparseL25kernel_get_permuted_arrayILj1024E21rocsparse_complex_numIfEiEEvT1_PKT0_PS4_PKS3_
	.p2align	8
	.type	_ZN9rocsparseL25kernel_get_permuted_arrayILj1024E21rocsparse_complex_numIfEiEEvT1_PKT0_PS4_PKS3_,@function
_ZN9rocsparseL25kernel_get_permuted_arrayILj1024E21rocsparse_complex_numIfEiEEvT1_PKT0_PS4_PKS3_: ; @_ZN9rocsparseL25kernel_get_permuted_arrayILj1024E21rocsparse_complex_numIfEiEEvT1_PKT0_PS4_PKS3_
; %bb.0:
	s_load_dword s0, s[4:5], 0x2c
	s_load_dword s1, s[4:5], 0x0
	s_waitcnt lgkmcnt(0)
	s_and_b32 s0, s0, 0xffff
	s_mul_i32 s6, s6, s0
	v_add_u32_e32 v0, s6, v0
	v_cmp_gt_i32_e32 vcc, s1, v0
	s_and_saveexec_b64 s[0:1], vcc
	s_cbranch_execz .LBB10_2
; %bb.1:
	s_load_dwordx2 s[0:1], s[4:5], 0x18
	v_ashrrev_i32_e32 v1, 31, v0
	v_lshlrev_b64 v[2:3], 2, v[0:1]
	v_lshlrev_b64 v[0:1], 3, v[0:1]
	s_waitcnt lgkmcnt(0)
	v_mov_b32_e32 v4, s1
	v_add_co_u32_e32 v2, vcc, s0, v2
	v_addc_co_u32_e32 v3, vcc, v4, v3, vcc
	global_load_dword v2, v[2:3], off
	s_load_dwordx4 s[0:3], s[4:5], 0x8
	s_waitcnt lgkmcnt(0)
	v_mov_b32_e32 v4, s1
	s_waitcnt vmcnt(0)
	v_ashrrev_i32_e32 v3, 31, v2
	v_lshlrev_b64 v[2:3], 3, v[2:3]
	v_add_co_u32_e32 v2, vcc, s0, v2
	v_addc_co_u32_e32 v3, vcc, v4, v3, vcc
	global_load_dwordx2 v[2:3], v[2:3], off
	v_mov_b32_e32 v4, s3
	v_add_co_u32_e32 v0, vcc, s2, v0
	v_addc_co_u32_e32 v1, vcc, v4, v1, vcc
	s_waitcnt vmcnt(0)
	global_store_dwordx2 v[0:1], v[2:3], off
.LBB10_2:
	s_endpgm
	.section	.rodata,"a",@progbits
	.p2align	6, 0x0
	.amdhsa_kernel _ZN9rocsparseL25kernel_get_permuted_arrayILj1024E21rocsparse_complex_numIfEiEEvT1_PKT0_PS4_PKS3_
		.amdhsa_group_segment_fixed_size 0
		.amdhsa_private_segment_fixed_size 0
		.amdhsa_kernarg_size 288
		.amdhsa_user_sgpr_count 6
		.amdhsa_user_sgpr_private_segment_buffer 1
		.amdhsa_user_sgpr_dispatch_ptr 0
		.amdhsa_user_sgpr_queue_ptr 0
		.amdhsa_user_sgpr_kernarg_segment_ptr 1
		.amdhsa_user_sgpr_dispatch_id 0
		.amdhsa_user_sgpr_flat_scratch_init 0
		.amdhsa_user_sgpr_kernarg_preload_length 0
		.amdhsa_user_sgpr_kernarg_preload_offset 0
		.amdhsa_user_sgpr_private_segment_size 0
		.amdhsa_uses_dynamic_stack 0
		.amdhsa_system_sgpr_private_segment_wavefront_offset 0
		.amdhsa_system_sgpr_workgroup_id_x 1
		.amdhsa_system_sgpr_workgroup_id_y 0
		.amdhsa_system_sgpr_workgroup_id_z 0
		.amdhsa_system_sgpr_workgroup_info 0
		.amdhsa_system_vgpr_workitem_id 0
		.amdhsa_next_free_vgpr 5
		.amdhsa_next_free_sgpr 7
		.amdhsa_accum_offset 8
		.amdhsa_reserve_vcc 1
		.amdhsa_reserve_flat_scratch 0
		.amdhsa_float_round_mode_32 0
		.amdhsa_float_round_mode_16_64 0
		.amdhsa_float_denorm_mode_32 3
		.amdhsa_float_denorm_mode_16_64 3
		.amdhsa_dx10_clamp 1
		.amdhsa_ieee_mode 1
		.amdhsa_fp16_overflow 0
		.amdhsa_tg_split 0
		.amdhsa_exception_fp_ieee_invalid_op 0
		.amdhsa_exception_fp_denorm_src 0
		.amdhsa_exception_fp_ieee_div_zero 0
		.amdhsa_exception_fp_ieee_overflow 0
		.amdhsa_exception_fp_ieee_underflow 0
		.amdhsa_exception_fp_ieee_inexact 0
		.amdhsa_exception_int_div_zero 0
	.end_amdhsa_kernel
	.section	.text._ZN9rocsparseL25kernel_get_permuted_arrayILj1024E21rocsparse_complex_numIfEiEEvT1_PKT0_PS4_PKS3_,"axG",@progbits,_ZN9rocsparseL25kernel_get_permuted_arrayILj1024E21rocsparse_complex_numIfEiEEvT1_PKT0_PS4_PKS3_,comdat
.Lfunc_end10:
	.size	_ZN9rocsparseL25kernel_get_permuted_arrayILj1024E21rocsparse_complex_numIfEiEEvT1_PKT0_PS4_PKS3_, .Lfunc_end10-_ZN9rocsparseL25kernel_get_permuted_arrayILj1024E21rocsparse_complex_numIfEiEEvT1_PKT0_PS4_PKS3_
                                        ; -- End function
	.section	.AMDGPU.csdata,"",@progbits
; Kernel info:
; codeLenInByte = 176
; NumSgprs: 11
; NumVgprs: 5
; NumAgprs: 0
; TotalNumVgprs: 5
; ScratchSize: 0
; MemoryBound: 0
; FloatMode: 240
; IeeeMode: 1
; LDSByteSize: 0 bytes/workgroup (compile time only)
; SGPRBlocks: 1
; VGPRBlocks: 0
; NumSGPRsForWavesPerEU: 11
; NumVGPRsForWavesPerEU: 5
; AccumOffset: 8
; Occupancy: 8
; WaveLimiterHint : 1
; COMPUTE_PGM_RSRC2:SCRATCH_EN: 0
; COMPUTE_PGM_RSRC2:USER_SGPR: 6
; COMPUTE_PGM_RSRC2:TRAP_HANDLER: 0
; COMPUTE_PGM_RSRC2:TGID_X_EN: 1
; COMPUTE_PGM_RSRC2:TGID_Y_EN: 0
; COMPUTE_PGM_RSRC2:TGID_Z_EN: 0
; COMPUTE_PGM_RSRC2:TIDIG_COMP_CNT: 0
; COMPUTE_PGM_RSRC3_GFX90A:ACCUM_OFFSET: 1
; COMPUTE_PGM_RSRC3_GFX90A:TG_SPLIT: 0
	.section	.text._ZN9rocsparseL25kernel_set_permuted_arrayILj1024E21rocsparse_complex_numIfEiEEvT1_PT0_PKS4_PKS3_,"axG",@progbits,_ZN9rocsparseL25kernel_set_permuted_arrayILj1024E21rocsparse_complex_numIfEiEEvT1_PT0_PKS4_PKS3_,comdat
	.globl	_ZN9rocsparseL25kernel_set_permuted_arrayILj1024E21rocsparse_complex_numIfEiEEvT1_PT0_PKS4_PKS3_ ; -- Begin function _ZN9rocsparseL25kernel_set_permuted_arrayILj1024E21rocsparse_complex_numIfEiEEvT1_PT0_PKS4_PKS3_
	.p2align	8
	.type	_ZN9rocsparseL25kernel_set_permuted_arrayILj1024E21rocsparse_complex_numIfEiEEvT1_PT0_PKS4_PKS3_,@function
_ZN9rocsparseL25kernel_set_permuted_arrayILj1024E21rocsparse_complex_numIfEiEEvT1_PT0_PKS4_PKS3_: ; @_ZN9rocsparseL25kernel_set_permuted_arrayILj1024E21rocsparse_complex_numIfEiEEvT1_PT0_PKS4_PKS3_
; %bb.0:
	s_load_dword s0, s[4:5], 0x2c
	s_load_dword s1, s[4:5], 0x0
	s_waitcnt lgkmcnt(0)
	s_and_b32 s0, s0, 0xffff
	s_mul_i32 s6, s6, s0
	v_add_u32_e32 v0, s6, v0
	v_cmp_gt_i32_e32 vcc, s1, v0
	s_and_saveexec_b64 s[0:1], vcc
	s_cbranch_execz .LBB11_2
; %bb.1:
	s_load_dwordx2 s[6:7], s[4:5], 0x18
	s_load_dwordx4 s[0:3], s[4:5], 0x8
	v_ashrrev_i32_e32 v1, 31, v0
	v_lshlrev_b64 v[2:3], 3, v[0:1]
	v_lshlrev_b64 v[0:1], 2, v[0:1]
	s_waitcnt lgkmcnt(0)
	v_mov_b32_e32 v4, s7
	v_add_co_u32_e32 v0, vcc, s6, v0
	v_addc_co_u32_e32 v1, vcc, v4, v1, vcc
	global_load_dword v0, v[0:1], off
	v_mov_b32_e32 v1, s3
	v_add_co_u32_e32 v2, vcc, s2, v2
	v_addc_co_u32_e32 v3, vcc, v1, v3, vcc
	global_load_dwordx2 v[2:3], v[2:3], off
	v_mov_b32_e32 v4, s1
	s_waitcnt vmcnt(1)
	v_ashrrev_i32_e32 v1, 31, v0
	v_lshlrev_b64 v[0:1], 3, v[0:1]
	v_add_co_u32_e32 v0, vcc, s0, v0
	v_addc_co_u32_e32 v1, vcc, v4, v1, vcc
	s_waitcnt vmcnt(0)
	global_store_dwordx2 v[0:1], v[2:3], off
.LBB11_2:
	s_endpgm
	.section	.rodata,"a",@progbits
	.p2align	6, 0x0
	.amdhsa_kernel _ZN9rocsparseL25kernel_set_permuted_arrayILj1024E21rocsparse_complex_numIfEiEEvT1_PT0_PKS4_PKS3_
		.amdhsa_group_segment_fixed_size 0
		.amdhsa_private_segment_fixed_size 0
		.amdhsa_kernarg_size 288
		.amdhsa_user_sgpr_count 6
		.amdhsa_user_sgpr_private_segment_buffer 1
		.amdhsa_user_sgpr_dispatch_ptr 0
		.amdhsa_user_sgpr_queue_ptr 0
		.amdhsa_user_sgpr_kernarg_segment_ptr 1
		.amdhsa_user_sgpr_dispatch_id 0
		.amdhsa_user_sgpr_flat_scratch_init 0
		.amdhsa_user_sgpr_kernarg_preload_length 0
		.amdhsa_user_sgpr_kernarg_preload_offset 0
		.amdhsa_user_sgpr_private_segment_size 0
		.amdhsa_uses_dynamic_stack 0
		.amdhsa_system_sgpr_private_segment_wavefront_offset 0
		.amdhsa_system_sgpr_workgroup_id_x 1
		.amdhsa_system_sgpr_workgroup_id_y 0
		.amdhsa_system_sgpr_workgroup_id_z 0
		.amdhsa_system_sgpr_workgroup_info 0
		.amdhsa_system_vgpr_workitem_id 0
		.amdhsa_next_free_vgpr 5
		.amdhsa_next_free_sgpr 8
		.amdhsa_accum_offset 8
		.amdhsa_reserve_vcc 1
		.amdhsa_reserve_flat_scratch 0
		.amdhsa_float_round_mode_32 0
		.amdhsa_float_round_mode_16_64 0
		.amdhsa_float_denorm_mode_32 3
		.amdhsa_float_denorm_mode_16_64 3
		.amdhsa_dx10_clamp 1
		.amdhsa_ieee_mode 1
		.amdhsa_fp16_overflow 0
		.amdhsa_tg_split 0
		.amdhsa_exception_fp_ieee_invalid_op 0
		.amdhsa_exception_fp_denorm_src 0
		.amdhsa_exception_fp_ieee_div_zero 0
		.amdhsa_exception_fp_ieee_overflow 0
		.amdhsa_exception_fp_ieee_underflow 0
		.amdhsa_exception_fp_ieee_inexact 0
		.amdhsa_exception_int_div_zero 0
	.end_amdhsa_kernel
	.section	.text._ZN9rocsparseL25kernel_set_permuted_arrayILj1024E21rocsparse_complex_numIfEiEEvT1_PT0_PKS4_PKS3_,"axG",@progbits,_ZN9rocsparseL25kernel_set_permuted_arrayILj1024E21rocsparse_complex_numIfEiEEvT1_PT0_PKS4_PKS3_,comdat
.Lfunc_end11:
	.size	_ZN9rocsparseL25kernel_set_permuted_arrayILj1024E21rocsparse_complex_numIfEiEEvT1_PT0_PKS4_PKS3_, .Lfunc_end11-_ZN9rocsparseL25kernel_set_permuted_arrayILj1024E21rocsparse_complex_numIfEiEEvT1_PT0_PKS4_PKS3_
                                        ; -- End function
	.section	.AMDGPU.csdata,"",@progbits
; Kernel info:
; codeLenInByte = 172
; NumSgprs: 12
; NumVgprs: 5
; NumAgprs: 0
; TotalNumVgprs: 5
; ScratchSize: 0
; MemoryBound: 0
; FloatMode: 240
; IeeeMode: 1
; LDSByteSize: 0 bytes/workgroup (compile time only)
; SGPRBlocks: 1
; VGPRBlocks: 0
; NumSGPRsForWavesPerEU: 12
; NumVGPRsForWavesPerEU: 5
; AccumOffset: 8
; Occupancy: 8
; WaveLimiterHint : 1
; COMPUTE_PGM_RSRC2:SCRATCH_EN: 0
; COMPUTE_PGM_RSRC2:USER_SGPR: 6
; COMPUTE_PGM_RSRC2:TRAP_HANDLER: 0
; COMPUTE_PGM_RSRC2:TGID_X_EN: 1
; COMPUTE_PGM_RSRC2:TGID_Y_EN: 0
; COMPUTE_PGM_RSRC2:TGID_Z_EN: 0
; COMPUTE_PGM_RSRC2:TIDIG_COMP_CNT: 0
; COMPUTE_PGM_RSRC3_GFX90A:ACCUM_OFFSET: 1
; COMPUTE_PGM_RSRC3_GFX90A:TG_SPLIT: 0
	.section	.text._ZN9rocsparseL25kernel_set_identity_arrayILj1024E21rocsparse_complex_numIdEiEEvT1_PT0_,"axG",@progbits,_ZN9rocsparseL25kernel_set_identity_arrayILj1024E21rocsparse_complex_numIdEiEEvT1_PT0_,comdat
	.globl	_ZN9rocsparseL25kernel_set_identity_arrayILj1024E21rocsparse_complex_numIdEiEEvT1_PT0_ ; -- Begin function _ZN9rocsparseL25kernel_set_identity_arrayILj1024E21rocsparse_complex_numIdEiEEvT1_PT0_
	.p2align	8
	.type	_ZN9rocsparseL25kernel_set_identity_arrayILj1024E21rocsparse_complex_numIdEiEEvT1_PT0_,@function
_ZN9rocsparseL25kernel_set_identity_arrayILj1024E21rocsparse_complex_numIdEiEEvT1_PT0_: ; @_ZN9rocsparseL25kernel_set_identity_arrayILj1024E21rocsparse_complex_numIdEiEEvT1_PT0_
; %bb.0:
	s_load_dword s0, s[4:5], 0x1c
	s_load_dword s1, s[4:5], 0x0
	s_waitcnt lgkmcnt(0)
	s_and_b32 s0, s0, 0xffff
	s_mul_i32 s6, s6, s0
	v_add_u32_e32 v0, s6, v0
	v_cmp_gt_i32_e32 vcc, s1, v0
	s_and_saveexec_b64 s[0:1], vcc
	s_cbranch_execz .LBB12_2
; %bb.1:
	s_load_dwordx2 s[0:1], s[4:5], 0x8
	v_ashrrev_i32_e32 v1, 31, v0
	v_lshlrev_b64 v[0:1], 4, v[0:1]
	s_waitcnt lgkmcnt(0)
	v_mov_b32_e32 v2, s1
	v_add_co_u32_e32 v4, vcc, s0, v0
	v_mov_b32_e32 v0, 0
	v_addc_co_u32_e32 v5, vcc, v2, v1, vcc
	v_mov_b32_e32 v1, 0x3ff00000
	v_mov_b32_e32 v2, v0
	;; [unrolled: 1-line block ×3, first 2 shown]
	global_store_dwordx4 v[4:5], v[0:3], off
.LBB12_2:
	s_endpgm
	.section	.rodata,"a",@progbits
	.p2align	6, 0x0
	.amdhsa_kernel _ZN9rocsparseL25kernel_set_identity_arrayILj1024E21rocsparse_complex_numIdEiEEvT1_PT0_
		.amdhsa_group_segment_fixed_size 0
		.amdhsa_private_segment_fixed_size 0
		.amdhsa_kernarg_size 272
		.amdhsa_user_sgpr_count 6
		.amdhsa_user_sgpr_private_segment_buffer 1
		.amdhsa_user_sgpr_dispatch_ptr 0
		.amdhsa_user_sgpr_queue_ptr 0
		.amdhsa_user_sgpr_kernarg_segment_ptr 1
		.amdhsa_user_sgpr_dispatch_id 0
		.amdhsa_user_sgpr_flat_scratch_init 0
		.amdhsa_user_sgpr_kernarg_preload_length 0
		.amdhsa_user_sgpr_kernarg_preload_offset 0
		.amdhsa_user_sgpr_private_segment_size 0
		.amdhsa_uses_dynamic_stack 0
		.amdhsa_system_sgpr_private_segment_wavefront_offset 0
		.amdhsa_system_sgpr_workgroup_id_x 1
		.amdhsa_system_sgpr_workgroup_id_y 0
		.amdhsa_system_sgpr_workgroup_id_z 0
		.amdhsa_system_sgpr_workgroup_info 0
		.amdhsa_system_vgpr_workitem_id 0
		.amdhsa_next_free_vgpr 6
		.amdhsa_next_free_sgpr 7
		.amdhsa_accum_offset 8
		.amdhsa_reserve_vcc 1
		.amdhsa_reserve_flat_scratch 0
		.amdhsa_float_round_mode_32 0
		.amdhsa_float_round_mode_16_64 0
		.amdhsa_float_denorm_mode_32 3
		.amdhsa_float_denorm_mode_16_64 3
		.amdhsa_dx10_clamp 1
		.amdhsa_ieee_mode 1
		.amdhsa_fp16_overflow 0
		.amdhsa_tg_split 0
		.amdhsa_exception_fp_ieee_invalid_op 0
		.amdhsa_exception_fp_denorm_src 0
		.amdhsa_exception_fp_ieee_div_zero 0
		.amdhsa_exception_fp_ieee_overflow 0
		.amdhsa_exception_fp_ieee_underflow 0
		.amdhsa_exception_fp_ieee_inexact 0
		.amdhsa_exception_int_div_zero 0
	.end_amdhsa_kernel
	.section	.text._ZN9rocsparseL25kernel_set_identity_arrayILj1024E21rocsparse_complex_numIdEiEEvT1_PT0_,"axG",@progbits,_ZN9rocsparseL25kernel_set_identity_arrayILj1024E21rocsparse_complex_numIdEiEEvT1_PT0_,comdat
.Lfunc_end12:
	.size	_ZN9rocsparseL25kernel_set_identity_arrayILj1024E21rocsparse_complex_numIdEiEEvT1_PT0_, .Lfunc_end12-_ZN9rocsparseL25kernel_set_identity_arrayILj1024E21rocsparse_complex_numIdEiEEvT1_PT0_
                                        ; -- End function
	.section	.AMDGPU.csdata,"",@progbits
; Kernel info:
; codeLenInByte = 116
; NumSgprs: 11
; NumVgprs: 6
; NumAgprs: 0
; TotalNumVgprs: 6
; ScratchSize: 0
; MemoryBound: 0
; FloatMode: 240
; IeeeMode: 1
; LDSByteSize: 0 bytes/workgroup (compile time only)
; SGPRBlocks: 1
; VGPRBlocks: 0
; NumSGPRsForWavesPerEU: 11
; NumVGPRsForWavesPerEU: 6
; AccumOffset: 8
; Occupancy: 8
; WaveLimiterHint : 0
; COMPUTE_PGM_RSRC2:SCRATCH_EN: 0
; COMPUTE_PGM_RSRC2:USER_SGPR: 6
; COMPUTE_PGM_RSRC2:TRAP_HANDLER: 0
; COMPUTE_PGM_RSRC2:TGID_X_EN: 1
; COMPUTE_PGM_RSRC2:TGID_Y_EN: 0
; COMPUTE_PGM_RSRC2:TGID_Z_EN: 0
; COMPUTE_PGM_RSRC2:TIDIG_COMP_CNT: 0
; COMPUTE_PGM_RSRC3_GFX90A:ACCUM_OFFSET: 1
; COMPUTE_PGM_RSRC3_GFX90A:TG_SPLIT: 0
	.section	.text._ZN9rocsparseL25kernel_get_permuted_arrayILj1024E21rocsparse_complex_numIdEiEEvT1_PKT0_PS4_PKS3_,"axG",@progbits,_ZN9rocsparseL25kernel_get_permuted_arrayILj1024E21rocsparse_complex_numIdEiEEvT1_PKT0_PS4_PKS3_,comdat
	.globl	_ZN9rocsparseL25kernel_get_permuted_arrayILj1024E21rocsparse_complex_numIdEiEEvT1_PKT0_PS4_PKS3_ ; -- Begin function _ZN9rocsparseL25kernel_get_permuted_arrayILj1024E21rocsparse_complex_numIdEiEEvT1_PKT0_PS4_PKS3_
	.p2align	8
	.type	_ZN9rocsparseL25kernel_get_permuted_arrayILj1024E21rocsparse_complex_numIdEiEEvT1_PKT0_PS4_PKS3_,@function
_ZN9rocsparseL25kernel_get_permuted_arrayILj1024E21rocsparse_complex_numIdEiEEvT1_PKT0_PS4_PKS3_: ; @_ZN9rocsparseL25kernel_get_permuted_arrayILj1024E21rocsparse_complex_numIdEiEEvT1_PKT0_PS4_PKS3_
; %bb.0:
	s_load_dword s0, s[4:5], 0x2c
	s_load_dword s1, s[4:5], 0x0
	s_waitcnt lgkmcnt(0)
	s_and_b32 s0, s0, 0xffff
	s_mul_i32 s6, s6, s0
	v_add_u32_e32 v0, s6, v0
	v_cmp_gt_i32_e32 vcc, s1, v0
	s_and_saveexec_b64 s[0:1], vcc
	s_cbranch_execz .LBB13_2
; %bb.1:
	s_load_dwordx2 s[0:1], s[4:5], 0x18
	v_ashrrev_i32_e32 v1, 31, v0
	v_lshlrev_b64 v[2:3], 2, v[0:1]
	v_lshlrev_b64 v[0:1], 4, v[0:1]
	s_waitcnt lgkmcnt(0)
	v_mov_b32_e32 v4, s1
	v_add_co_u32_e32 v2, vcc, s0, v2
	v_addc_co_u32_e32 v3, vcc, v4, v3, vcc
	global_load_dword v2, v[2:3], off
	s_load_dwordx4 s[0:3], s[4:5], 0x8
	s_waitcnt lgkmcnt(0)
	v_mov_b32_e32 v4, s1
	v_mov_b32_e32 v6, s3
	s_waitcnt vmcnt(0)
	v_ashrrev_i32_e32 v3, 31, v2
	v_lshlrev_b64 v[2:3], 4, v[2:3]
	v_add_co_u32_e32 v2, vcc, s0, v2
	v_addc_co_u32_e32 v3, vcc, v4, v3, vcc
	global_load_dwordx4 v[2:5], v[2:3], off
	v_add_co_u32_e32 v0, vcc, s2, v0
	v_addc_co_u32_e32 v1, vcc, v6, v1, vcc
	s_waitcnt vmcnt(0)
	global_store_dwordx4 v[0:1], v[2:5], off
.LBB13_2:
	s_endpgm
	.section	.rodata,"a",@progbits
	.p2align	6, 0x0
	.amdhsa_kernel _ZN9rocsparseL25kernel_get_permuted_arrayILj1024E21rocsparse_complex_numIdEiEEvT1_PKT0_PS4_PKS3_
		.amdhsa_group_segment_fixed_size 0
		.amdhsa_private_segment_fixed_size 0
		.amdhsa_kernarg_size 288
		.amdhsa_user_sgpr_count 6
		.amdhsa_user_sgpr_private_segment_buffer 1
		.amdhsa_user_sgpr_dispatch_ptr 0
		.amdhsa_user_sgpr_queue_ptr 0
		.amdhsa_user_sgpr_kernarg_segment_ptr 1
		.amdhsa_user_sgpr_dispatch_id 0
		.amdhsa_user_sgpr_flat_scratch_init 0
		.amdhsa_user_sgpr_kernarg_preload_length 0
		.amdhsa_user_sgpr_kernarg_preload_offset 0
		.amdhsa_user_sgpr_private_segment_size 0
		.amdhsa_uses_dynamic_stack 0
		.amdhsa_system_sgpr_private_segment_wavefront_offset 0
		.amdhsa_system_sgpr_workgroup_id_x 1
		.amdhsa_system_sgpr_workgroup_id_y 0
		.amdhsa_system_sgpr_workgroup_id_z 0
		.amdhsa_system_sgpr_workgroup_info 0
		.amdhsa_system_vgpr_workitem_id 0
		.amdhsa_next_free_vgpr 7
		.amdhsa_next_free_sgpr 7
		.amdhsa_accum_offset 8
		.amdhsa_reserve_vcc 1
		.amdhsa_reserve_flat_scratch 0
		.amdhsa_float_round_mode_32 0
		.amdhsa_float_round_mode_16_64 0
		.amdhsa_float_denorm_mode_32 3
		.amdhsa_float_denorm_mode_16_64 3
		.amdhsa_dx10_clamp 1
		.amdhsa_ieee_mode 1
		.amdhsa_fp16_overflow 0
		.amdhsa_tg_split 0
		.amdhsa_exception_fp_ieee_invalid_op 0
		.amdhsa_exception_fp_denorm_src 0
		.amdhsa_exception_fp_ieee_div_zero 0
		.amdhsa_exception_fp_ieee_overflow 0
		.amdhsa_exception_fp_ieee_underflow 0
		.amdhsa_exception_fp_ieee_inexact 0
		.amdhsa_exception_int_div_zero 0
	.end_amdhsa_kernel
	.section	.text._ZN9rocsparseL25kernel_get_permuted_arrayILj1024E21rocsparse_complex_numIdEiEEvT1_PKT0_PS4_PKS3_,"axG",@progbits,_ZN9rocsparseL25kernel_get_permuted_arrayILj1024E21rocsparse_complex_numIdEiEEvT1_PKT0_PS4_PKS3_,comdat
.Lfunc_end13:
	.size	_ZN9rocsparseL25kernel_get_permuted_arrayILj1024E21rocsparse_complex_numIdEiEEvT1_PKT0_PS4_PKS3_, .Lfunc_end13-_ZN9rocsparseL25kernel_get_permuted_arrayILj1024E21rocsparse_complex_numIdEiEEvT1_PKT0_PS4_PKS3_
                                        ; -- End function
	.section	.AMDGPU.csdata,"",@progbits
; Kernel info:
; codeLenInByte = 176
; NumSgprs: 11
; NumVgprs: 7
; NumAgprs: 0
; TotalNumVgprs: 7
; ScratchSize: 0
; MemoryBound: 0
; FloatMode: 240
; IeeeMode: 1
; LDSByteSize: 0 bytes/workgroup (compile time only)
; SGPRBlocks: 1
; VGPRBlocks: 0
; NumSGPRsForWavesPerEU: 11
; NumVGPRsForWavesPerEU: 7
; AccumOffset: 8
; Occupancy: 8
; WaveLimiterHint : 0
; COMPUTE_PGM_RSRC2:SCRATCH_EN: 0
; COMPUTE_PGM_RSRC2:USER_SGPR: 6
; COMPUTE_PGM_RSRC2:TRAP_HANDLER: 0
; COMPUTE_PGM_RSRC2:TGID_X_EN: 1
; COMPUTE_PGM_RSRC2:TGID_Y_EN: 0
; COMPUTE_PGM_RSRC2:TGID_Z_EN: 0
; COMPUTE_PGM_RSRC2:TIDIG_COMP_CNT: 0
; COMPUTE_PGM_RSRC3_GFX90A:ACCUM_OFFSET: 1
; COMPUTE_PGM_RSRC3_GFX90A:TG_SPLIT: 0
	.section	.text._ZN9rocsparseL25kernel_set_permuted_arrayILj1024E21rocsparse_complex_numIdEiEEvT1_PT0_PKS4_PKS3_,"axG",@progbits,_ZN9rocsparseL25kernel_set_permuted_arrayILj1024E21rocsparse_complex_numIdEiEEvT1_PT0_PKS4_PKS3_,comdat
	.globl	_ZN9rocsparseL25kernel_set_permuted_arrayILj1024E21rocsparse_complex_numIdEiEEvT1_PT0_PKS4_PKS3_ ; -- Begin function _ZN9rocsparseL25kernel_set_permuted_arrayILj1024E21rocsparse_complex_numIdEiEEvT1_PT0_PKS4_PKS3_
	.p2align	8
	.type	_ZN9rocsparseL25kernel_set_permuted_arrayILj1024E21rocsparse_complex_numIdEiEEvT1_PT0_PKS4_PKS3_,@function
_ZN9rocsparseL25kernel_set_permuted_arrayILj1024E21rocsparse_complex_numIdEiEEvT1_PT0_PKS4_PKS3_: ; @_ZN9rocsparseL25kernel_set_permuted_arrayILj1024E21rocsparse_complex_numIdEiEEvT1_PT0_PKS4_PKS3_
; %bb.0:
	s_load_dword s0, s[4:5], 0x2c
	s_load_dword s1, s[4:5], 0x0
	s_waitcnt lgkmcnt(0)
	s_and_b32 s0, s0, 0xffff
	s_mul_i32 s6, s6, s0
	v_add_u32_e32 v0, s6, v0
	v_cmp_gt_i32_e32 vcc, s1, v0
	s_and_saveexec_b64 s[0:1], vcc
	s_cbranch_execz .LBB14_2
; %bb.1:
	s_load_dwordx2 s[6:7], s[4:5], 0x18
	s_load_dwordx4 s[0:3], s[4:5], 0x8
	v_ashrrev_i32_e32 v1, 31, v0
	v_lshlrev_b64 v[2:3], 2, v[0:1]
	v_lshlrev_b64 v[0:1], 4, v[0:1]
	s_waitcnt lgkmcnt(0)
	v_mov_b32_e32 v4, s7
	v_add_co_u32_e32 v2, vcc, s6, v2
	v_addc_co_u32_e32 v3, vcc, v4, v3, vcc
	global_load_dword v4, v[2:3], off
	v_mov_b32_e32 v2, s3
	v_add_co_u32_e32 v0, vcc, s2, v0
	v_addc_co_u32_e32 v1, vcc, v2, v1, vcc
	global_load_dwordx4 v[0:3], v[0:1], off
	v_mov_b32_e32 v6, s1
	s_waitcnt vmcnt(1)
	v_ashrrev_i32_e32 v5, 31, v4
	v_lshlrev_b64 v[4:5], 4, v[4:5]
	v_add_co_u32_e32 v4, vcc, s0, v4
	v_addc_co_u32_e32 v5, vcc, v6, v5, vcc
	s_waitcnt vmcnt(0)
	global_store_dwordx4 v[4:5], v[0:3], off
.LBB14_2:
	s_endpgm
	.section	.rodata,"a",@progbits
	.p2align	6, 0x0
	.amdhsa_kernel _ZN9rocsparseL25kernel_set_permuted_arrayILj1024E21rocsparse_complex_numIdEiEEvT1_PT0_PKS4_PKS3_
		.amdhsa_group_segment_fixed_size 0
		.amdhsa_private_segment_fixed_size 0
		.amdhsa_kernarg_size 288
		.amdhsa_user_sgpr_count 6
		.amdhsa_user_sgpr_private_segment_buffer 1
		.amdhsa_user_sgpr_dispatch_ptr 0
		.amdhsa_user_sgpr_queue_ptr 0
		.amdhsa_user_sgpr_kernarg_segment_ptr 1
		.amdhsa_user_sgpr_dispatch_id 0
		.amdhsa_user_sgpr_flat_scratch_init 0
		.amdhsa_user_sgpr_kernarg_preload_length 0
		.amdhsa_user_sgpr_kernarg_preload_offset 0
		.amdhsa_user_sgpr_private_segment_size 0
		.amdhsa_uses_dynamic_stack 0
		.amdhsa_system_sgpr_private_segment_wavefront_offset 0
		.amdhsa_system_sgpr_workgroup_id_x 1
		.amdhsa_system_sgpr_workgroup_id_y 0
		.amdhsa_system_sgpr_workgroup_id_z 0
		.amdhsa_system_sgpr_workgroup_info 0
		.amdhsa_system_vgpr_workitem_id 0
		.amdhsa_next_free_vgpr 7
		.amdhsa_next_free_sgpr 8
		.amdhsa_accum_offset 8
		.amdhsa_reserve_vcc 1
		.amdhsa_reserve_flat_scratch 0
		.amdhsa_float_round_mode_32 0
		.amdhsa_float_round_mode_16_64 0
		.amdhsa_float_denorm_mode_32 3
		.amdhsa_float_denorm_mode_16_64 3
		.amdhsa_dx10_clamp 1
		.amdhsa_ieee_mode 1
		.amdhsa_fp16_overflow 0
		.amdhsa_tg_split 0
		.amdhsa_exception_fp_ieee_invalid_op 0
		.amdhsa_exception_fp_denorm_src 0
		.amdhsa_exception_fp_ieee_div_zero 0
		.amdhsa_exception_fp_ieee_overflow 0
		.amdhsa_exception_fp_ieee_underflow 0
		.amdhsa_exception_fp_ieee_inexact 0
		.amdhsa_exception_int_div_zero 0
	.end_amdhsa_kernel
	.section	.text._ZN9rocsparseL25kernel_set_permuted_arrayILj1024E21rocsparse_complex_numIdEiEEvT1_PT0_PKS4_PKS3_,"axG",@progbits,_ZN9rocsparseL25kernel_set_permuted_arrayILj1024E21rocsparse_complex_numIdEiEEvT1_PT0_PKS4_PKS3_,comdat
.Lfunc_end14:
	.size	_ZN9rocsparseL25kernel_set_permuted_arrayILj1024E21rocsparse_complex_numIdEiEEvT1_PT0_PKS4_PKS3_, .Lfunc_end14-_ZN9rocsparseL25kernel_set_permuted_arrayILj1024E21rocsparse_complex_numIdEiEEvT1_PT0_PKS4_PKS3_
                                        ; -- End function
	.section	.AMDGPU.csdata,"",@progbits
; Kernel info:
; codeLenInByte = 172
; NumSgprs: 12
; NumVgprs: 7
; NumAgprs: 0
; TotalNumVgprs: 7
; ScratchSize: 0
; MemoryBound: 0
; FloatMode: 240
; IeeeMode: 1
; LDSByteSize: 0 bytes/workgroup (compile time only)
; SGPRBlocks: 1
; VGPRBlocks: 0
; NumSGPRsForWavesPerEU: 12
; NumVGPRsForWavesPerEU: 7
; AccumOffset: 8
; Occupancy: 8
; WaveLimiterHint : 1
; COMPUTE_PGM_RSRC2:SCRATCH_EN: 0
; COMPUTE_PGM_RSRC2:USER_SGPR: 6
; COMPUTE_PGM_RSRC2:TRAP_HANDLER: 0
; COMPUTE_PGM_RSRC2:TGID_X_EN: 1
; COMPUTE_PGM_RSRC2:TGID_Y_EN: 0
; COMPUTE_PGM_RSRC2:TGID_Z_EN: 0
; COMPUTE_PGM_RSRC2:TIDIG_COMP_CNT: 0
; COMPUTE_PGM_RSRC3_GFX90A:ACCUM_OFFSET: 1
; COMPUTE_PGM_RSRC3_GFX90A:TG_SPLIT: 0
	.section	.text._ZN9rocsparseL25kernel_set_identity_arrayILj256EfiEEvT1_PT0_,"axG",@progbits,_ZN9rocsparseL25kernel_set_identity_arrayILj256EfiEEvT1_PT0_,comdat
	.globl	_ZN9rocsparseL25kernel_set_identity_arrayILj256EfiEEvT1_PT0_ ; -- Begin function _ZN9rocsparseL25kernel_set_identity_arrayILj256EfiEEvT1_PT0_
	.p2align	8
	.type	_ZN9rocsparseL25kernel_set_identity_arrayILj256EfiEEvT1_PT0_,@function
_ZN9rocsparseL25kernel_set_identity_arrayILj256EfiEEvT1_PT0_: ; @_ZN9rocsparseL25kernel_set_identity_arrayILj256EfiEEvT1_PT0_
; %bb.0:
	s_load_dword s0, s[4:5], 0x1c
	s_load_dword s1, s[4:5], 0x0
	s_waitcnt lgkmcnt(0)
	s_and_b32 s0, s0, 0xffff
	s_mul_i32 s6, s6, s0
	v_add_u32_e32 v0, s6, v0
	v_cmp_gt_i32_e32 vcc, s1, v0
	s_and_saveexec_b64 s[0:1], vcc
	s_cbranch_execz .LBB15_2
; %bb.1:
	s_load_dwordx2 s[0:1], s[4:5], 0x8
	v_ashrrev_i32_e32 v1, 31, v0
	v_lshlrev_b64 v[0:1], 2, v[0:1]
	s_waitcnt lgkmcnt(0)
	v_mov_b32_e32 v2, s1
	v_add_co_u32_e32 v0, vcc, s0, v0
	v_addc_co_u32_e32 v1, vcc, v2, v1, vcc
	v_mov_b32_e32 v2, 1.0
	global_store_dword v[0:1], v2, off
.LBB15_2:
	s_endpgm
	.section	.rodata,"a",@progbits
	.p2align	6, 0x0
	.amdhsa_kernel _ZN9rocsparseL25kernel_set_identity_arrayILj256EfiEEvT1_PT0_
		.amdhsa_group_segment_fixed_size 0
		.amdhsa_private_segment_fixed_size 0
		.amdhsa_kernarg_size 272
		.amdhsa_user_sgpr_count 6
		.amdhsa_user_sgpr_private_segment_buffer 1
		.amdhsa_user_sgpr_dispatch_ptr 0
		.amdhsa_user_sgpr_queue_ptr 0
		.amdhsa_user_sgpr_kernarg_segment_ptr 1
		.amdhsa_user_sgpr_dispatch_id 0
		.amdhsa_user_sgpr_flat_scratch_init 0
		.amdhsa_user_sgpr_kernarg_preload_length 0
		.amdhsa_user_sgpr_kernarg_preload_offset 0
		.amdhsa_user_sgpr_private_segment_size 0
		.amdhsa_uses_dynamic_stack 0
		.amdhsa_system_sgpr_private_segment_wavefront_offset 0
		.amdhsa_system_sgpr_workgroup_id_x 1
		.amdhsa_system_sgpr_workgroup_id_y 0
		.amdhsa_system_sgpr_workgroup_id_z 0
		.amdhsa_system_sgpr_workgroup_info 0
		.amdhsa_system_vgpr_workitem_id 0
		.amdhsa_next_free_vgpr 3
		.amdhsa_next_free_sgpr 7
		.amdhsa_accum_offset 4
		.amdhsa_reserve_vcc 1
		.amdhsa_reserve_flat_scratch 0
		.amdhsa_float_round_mode_32 0
		.amdhsa_float_round_mode_16_64 0
		.amdhsa_float_denorm_mode_32 3
		.amdhsa_float_denorm_mode_16_64 3
		.amdhsa_dx10_clamp 1
		.amdhsa_ieee_mode 1
		.amdhsa_fp16_overflow 0
		.amdhsa_tg_split 0
		.amdhsa_exception_fp_ieee_invalid_op 0
		.amdhsa_exception_fp_denorm_src 0
		.amdhsa_exception_fp_ieee_div_zero 0
		.amdhsa_exception_fp_ieee_overflow 0
		.amdhsa_exception_fp_ieee_underflow 0
		.amdhsa_exception_fp_ieee_inexact 0
		.amdhsa_exception_int_div_zero 0
	.end_amdhsa_kernel
	.section	.text._ZN9rocsparseL25kernel_set_identity_arrayILj256EfiEEvT1_PT0_,"axG",@progbits,_ZN9rocsparseL25kernel_set_identity_arrayILj256EfiEEvT1_PT0_,comdat
.Lfunc_end15:
	.size	_ZN9rocsparseL25kernel_set_identity_arrayILj256EfiEEvT1_PT0_, .Lfunc_end15-_ZN9rocsparseL25kernel_set_identity_arrayILj256EfiEEvT1_PT0_
                                        ; -- End function
	.section	.AMDGPU.csdata,"",@progbits
; Kernel info:
; codeLenInByte = 100
; NumSgprs: 11
; NumVgprs: 3
; NumAgprs: 0
; TotalNumVgprs: 3
; ScratchSize: 0
; MemoryBound: 0
; FloatMode: 240
; IeeeMode: 1
; LDSByteSize: 0 bytes/workgroup (compile time only)
; SGPRBlocks: 1
; VGPRBlocks: 0
; NumSGPRsForWavesPerEU: 11
; NumVGPRsForWavesPerEU: 3
; AccumOffset: 4
; Occupancy: 8
; WaveLimiterHint : 0
; COMPUTE_PGM_RSRC2:SCRATCH_EN: 0
; COMPUTE_PGM_RSRC2:USER_SGPR: 6
; COMPUTE_PGM_RSRC2:TRAP_HANDLER: 0
; COMPUTE_PGM_RSRC2:TGID_X_EN: 1
; COMPUTE_PGM_RSRC2:TGID_Y_EN: 0
; COMPUTE_PGM_RSRC2:TGID_Z_EN: 0
; COMPUTE_PGM_RSRC2:TIDIG_COMP_CNT: 0
; COMPUTE_PGM_RSRC3_GFX90A:ACCUM_OFFSET: 0
; COMPUTE_PGM_RSRC3_GFX90A:TG_SPLIT: 0
	.section	.text._ZN9rocsparseL25kernel_get_permuted_arrayILj256EfiEEvT1_PKT0_PS2_PKS1_,"axG",@progbits,_ZN9rocsparseL25kernel_get_permuted_arrayILj256EfiEEvT1_PKT0_PS2_PKS1_,comdat
	.globl	_ZN9rocsparseL25kernel_get_permuted_arrayILj256EfiEEvT1_PKT0_PS2_PKS1_ ; -- Begin function _ZN9rocsparseL25kernel_get_permuted_arrayILj256EfiEEvT1_PKT0_PS2_PKS1_
	.p2align	8
	.type	_ZN9rocsparseL25kernel_get_permuted_arrayILj256EfiEEvT1_PKT0_PS2_PKS1_,@function
_ZN9rocsparseL25kernel_get_permuted_arrayILj256EfiEEvT1_PKT0_PS2_PKS1_: ; @_ZN9rocsparseL25kernel_get_permuted_arrayILj256EfiEEvT1_PKT0_PS2_PKS1_
; %bb.0:
	s_load_dword s0, s[4:5], 0x2c
	s_load_dword s1, s[4:5], 0x0
	s_waitcnt lgkmcnt(0)
	s_and_b32 s0, s0, 0xffff
	s_mul_i32 s6, s6, s0
	v_add_u32_e32 v0, s6, v0
	v_cmp_gt_i32_e32 vcc, s1, v0
	s_and_saveexec_b64 s[0:1], vcc
	s_cbranch_execz .LBB16_2
; %bb.1:
	s_load_dwordx2 s[0:1], s[4:5], 0x18
	v_ashrrev_i32_e32 v1, 31, v0
	v_lshlrev_b64 v[0:1], 2, v[0:1]
	s_waitcnt lgkmcnt(0)
	v_mov_b32_e32 v3, s1
	v_add_co_u32_e32 v2, vcc, s0, v0
	v_addc_co_u32_e32 v3, vcc, v3, v1, vcc
	global_load_dword v2, v[2:3], off
	s_load_dwordx4 s[0:3], s[4:5], 0x8
	s_waitcnt lgkmcnt(0)
	v_mov_b32_e32 v4, s1
	s_waitcnt vmcnt(0)
	v_ashrrev_i32_e32 v3, 31, v2
	v_lshlrev_b64 v[2:3], 2, v[2:3]
	v_add_co_u32_e32 v2, vcc, s0, v2
	v_addc_co_u32_e32 v3, vcc, v4, v3, vcc
	global_load_dword v2, v[2:3], off
	v_mov_b32_e32 v3, s3
	v_add_co_u32_e32 v0, vcc, s2, v0
	v_addc_co_u32_e32 v1, vcc, v3, v1, vcc
	s_waitcnt vmcnt(0)
	global_store_dword v[0:1], v2, off
.LBB16_2:
	s_endpgm
	.section	.rodata,"a",@progbits
	.p2align	6, 0x0
	.amdhsa_kernel _ZN9rocsparseL25kernel_get_permuted_arrayILj256EfiEEvT1_PKT0_PS2_PKS1_
		.amdhsa_group_segment_fixed_size 0
		.amdhsa_private_segment_fixed_size 0
		.amdhsa_kernarg_size 288
		.amdhsa_user_sgpr_count 6
		.amdhsa_user_sgpr_private_segment_buffer 1
		.amdhsa_user_sgpr_dispatch_ptr 0
		.amdhsa_user_sgpr_queue_ptr 0
		.amdhsa_user_sgpr_kernarg_segment_ptr 1
		.amdhsa_user_sgpr_dispatch_id 0
		.amdhsa_user_sgpr_flat_scratch_init 0
		.amdhsa_user_sgpr_kernarg_preload_length 0
		.amdhsa_user_sgpr_kernarg_preload_offset 0
		.amdhsa_user_sgpr_private_segment_size 0
		.amdhsa_uses_dynamic_stack 0
		.amdhsa_system_sgpr_private_segment_wavefront_offset 0
		.amdhsa_system_sgpr_workgroup_id_x 1
		.amdhsa_system_sgpr_workgroup_id_y 0
		.amdhsa_system_sgpr_workgroup_id_z 0
		.amdhsa_system_sgpr_workgroup_info 0
		.amdhsa_system_vgpr_workitem_id 0
		.amdhsa_next_free_vgpr 5
		.amdhsa_next_free_sgpr 7
		.amdhsa_accum_offset 8
		.amdhsa_reserve_vcc 1
		.amdhsa_reserve_flat_scratch 0
		.amdhsa_float_round_mode_32 0
		.amdhsa_float_round_mode_16_64 0
		.amdhsa_float_denorm_mode_32 3
		.amdhsa_float_denorm_mode_16_64 3
		.amdhsa_dx10_clamp 1
		.amdhsa_ieee_mode 1
		.amdhsa_fp16_overflow 0
		.amdhsa_tg_split 0
		.amdhsa_exception_fp_ieee_invalid_op 0
		.amdhsa_exception_fp_denorm_src 0
		.amdhsa_exception_fp_ieee_div_zero 0
		.amdhsa_exception_fp_ieee_overflow 0
		.amdhsa_exception_fp_ieee_underflow 0
		.amdhsa_exception_fp_ieee_inexact 0
		.amdhsa_exception_int_div_zero 0
	.end_amdhsa_kernel
	.section	.text._ZN9rocsparseL25kernel_get_permuted_arrayILj256EfiEEvT1_PKT0_PS2_PKS1_,"axG",@progbits,_ZN9rocsparseL25kernel_get_permuted_arrayILj256EfiEEvT1_PKT0_PS2_PKS1_,comdat
.Lfunc_end16:
	.size	_ZN9rocsparseL25kernel_get_permuted_arrayILj256EfiEEvT1_PKT0_PS2_PKS1_, .Lfunc_end16-_ZN9rocsparseL25kernel_get_permuted_arrayILj256EfiEEvT1_PKT0_PS2_PKS1_
                                        ; -- End function
	.section	.AMDGPU.csdata,"",@progbits
; Kernel info:
; codeLenInByte = 168
; NumSgprs: 11
; NumVgprs: 5
; NumAgprs: 0
; TotalNumVgprs: 5
; ScratchSize: 0
; MemoryBound: 0
; FloatMode: 240
; IeeeMode: 1
; LDSByteSize: 0 bytes/workgroup (compile time only)
; SGPRBlocks: 1
; VGPRBlocks: 0
; NumSGPRsForWavesPerEU: 11
; NumVGPRsForWavesPerEU: 5
; AccumOffset: 8
; Occupancy: 8
; WaveLimiterHint : 1
; COMPUTE_PGM_RSRC2:SCRATCH_EN: 0
; COMPUTE_PGM_RSRC2:USER_SGPR: 6
; COMPUTE_PGM_RSRC2:TRAP_HANDLER: 0
; COMPUTE_PGM_RSRC2:TGID_X_EN: 1
; COMPUTE_PGM_RSRC2:TGID_Y_EN: 0
; COMPUTE_PGM_RSRC2:TGID_Z_EN: 0
; COMPUTE_PGM_RSRC2:TIDIG_COMP_CNT: 0
; COMPUTE_PGM_RSRC3_GFX90A:ACCUM_OFFSET: 1
; COMPUTE_PGM_RSRC3_GFX90A:TG_SPLIT: 0
	.section	.text._ZN9rocsparseL25kernel_set_permuted_arrayILj256EfiEEvT1_PT0_PKS2_PKS1_,"axG",@progbits,_ZN9rocsparseL25kernel_set_permuted_arrayILj256EfiEEvT1_PT0_PKS2_PKS1_,comdat
	.globl	_ZN9rocsparseL25kernel_set_permuted_arrayILj256EfiEEvT1_PT0_PKS2_PKS1_ ; -- Begin function _ZN9rocsparseL25kernel_set_permuted_arrayILj256EfiEEvT1_PT0_PKS2_PKS1_
	.p2align	8
	.type	_ZN9rocsparseL25kernel_set_permuted_arrayILj256EfiEEvT1_PT0_PKS2_PKS1_,@function
_ZN9rocsparseL25kernel_set_permuted_arrayILj256EfiEEvT1_PT0_PKS2_PKS1_: ; @_ZN9rocsparseL25kernel_set_permuted_arrayILj256EfiEEvT1_PT0_PKS2_PKS1_
; %bb.0:
	s_load_dword s0, s[4:5], 0x2c
	s_load_dword s1, s[4:5], 0x0
	s_waitcnt lgkmcnt(0)
	s_and_b32 s0, s0, 0xffff
	s_mul_i32 s6, s6, s0
	v_add_u32_e32 v0, s6, v0
	v_cmp_gt_i32_e32 vcc, s1, v0
	s_and_saveexec_b64 s[0:1], vcc
	s_cbranch_execz .LBB17_2
; %bb.1:
	s_load_dwordx2 s[6:7], s[4:5], 0x18
	s_load_dwordx4 s[0:3], s[4:5], 0x8
	v_ashrrev_i32_e32 v1, 31, v0
	v_lshlrev_b64 v[0:1], 2, v[0:1]
	s_waitcnt lgkmcnt(0)
	v_mov_b32_e32 v3, s7
	v_add_co_u32_e32 v2, vcc, s6, v0
	v_addc_co_u32_e32 v3, vcc, v3, v1, vcc
	global_load_dword v2, v[2:3], off
	v_mov_b32_e32 v3, s3
	v_add_co_u32_e32 v0, vcc, s2, v0
	v_addc_co_u32_e32 v1, vcc, v3, v1, vcc
	global_load_dword v4, v[0:1], off
	v_mov_b32_e32 v5, s1
	s_waitcnt vmcnt(1)
	v_ashrrev_i32_e32 v3, 31, v2
	v_lshlrev_b64 v[0:1], 2, v[2:3]
	v_add_co_u32_e32 v0, vcc, s0, v0
	v_addc_co_u32_e32 v1, vcc, v5, v1, vcc
	s_waitcnt vmcnt(0)
	global_store_dword v[0:1], v4, off
.LBB17_2:
	s_endpgm
	.section	.rodata,"a",@progbits
	.p2align	6, 0x0
	.amdhsa_kernel _ZN9rocsparseL25kernel_set_permuted_arrayILj256EfiEEvT1_PT0_PKS2_PKS1_
		.amdhsa_group_segment_fixed_size 0
		.amdhsa_private_segment_fixed_size 0
		.amdhsa_kernarg_size 288
		.amdhsa_user_sgpr_count 6
		.amdhsa_user_sgpr_private_segment_buffer 1
		.amdhsa_user_sgpr_dispatch_ptr 0
		.amdhsa_user_sgpr_queue_ptr 0
		.amdhsa_user_sgpr_kernarg_segment_ptr 1
		.amdhsa_user_sgpr_dispatch_id 0
		.amdhsa_user_sgpr_flat_scratch_init 0
		.amdhsa_user_sgpr_kernarg_preload_length 0
		.amdhsa_user_sgpr_kernarg_preload_offset 0
		.amdhsa_user_sgpr_private_segment_size 0
		.amdhsa_uses_dynamic_stack 0
		.amdhsa_system_sgpr_private_segment_wavefront_offset 0
		.amdhsa_system_sgpr_workgroup_id_x 1
		.amdhsa_system_sgpr_workgroup_id_y 0
		.amdhsa_system_sgpr_workgroup_id_z 0
		.amdhsa_system_sgpr_workgroup_info 0
		.amdhsa_system_vgpr_workitem_id 0
		.amdhsa_next_free_vgpr 6
		.amdhsa_next_free_sgpr 8
		.amdhsa_accum_offset 8
		.amdhsa_reserve_vcc 1
		.amdhsa_reserve_flat_scratch 0
		.amdhsa_float_round_mode_32 0
		.amdhsa_float_round_mode_16_64 0
		.amdhsa_float_denorm_mode_32 3
		.amdhsa_float_denorm_mode_16_64 3
		.amdhsa_dx10_clamp 1
		.amdhsa_ieee_mode 1
		.amdhsa_fp16_overflow 0
		.amdhsa_tg_split 0
		.amdhsa_exception_fp_ieee_invalid_op 0
		.amdhsa_exception_fp_denorm_src 0
		.amdhsa_exception_fp_ieee_div_zero 0
		.amdhsa_exception_fp_ieee_overflow 0
		.amdhsa_exception_fp_ieee_underflow 0
		.amdhsa_exception_fp_ieee_inexact 0
		.amdhsa_exception_int_div_zero 0
	.end_amdhsa_kernel
	.section	.text._ZN9rocsparseL25kernel_set_permuted_arrayILj256EfiEEvT1_PT0_PKS2_PKS1_,"axG",@progbits,_ZN9rocsparseL25kernel_set_permuted_arrayILj256EfiEEvT1_PT0_PKS2_PKS1_,comdat
.Lfunc_end17:
	.size	_ZN9rocsparseL25kernel_set_permuted_arrayILj256EfiEEvT1_PT0_PKS2_PKS1_, .Lfunc_end17-_ZN9rocsparseL25kernel_set_permuted_arrayILj256EfiEEvT1_PT0_PKS2_PKS1_
                                        ; -- End function
	.section	.AMDGPU.csdata,"",@progbits
; Kernel info:
; codeLenInByte = 164
; NumSgprs: 12
; NumVgprs: 6
; NumAgprs: 0
; TotalNumVgprs: 6
; ScratchSize: 0
; MemoryBound: 0
; FloatMode: 240
; IeeeMode: 1
; LDSByteSize: 0 bytes/workgroup (compile time only)
; SGPRBlocks: 1
; VGPRBlocks: 0
; NumSGPRsForWavesPerEU: 12
; NumVGPRsForWavesPerEU: 6
; AccumOffset: 8
; Occupancy: 8
; WaveLimiterHint : 1
; COMPUTE_PGM_RSRC2:SCRATCH_EN: 0
; COMPUTE_PGM_RSRC2:USER_SGPR: 6
; COMPUTE_PGM_RSRC2:TRAP_HANDLER: 0
; COMPUTE_PGM_RSRC2:TGID_X_EN: 1
; COMPUTE_PGM_RSRC2:TGID_Y_EN: 0
; COMPUTE_PGM_RSRC2:TGID_Z_EN: 0
; COMPUTE_PGM_RSRC2:TIDIG_COMP_CNT: 0
; COMPUTE_PGM_RSRC3_GFX90A:ACCUM_OFFSET: 1
; COMPUTE_PGM_RSRC3_GFX90A:TG_SPLIT: 0
	.section	.text._ZN9rocsparseL25kernel_set_identity_arrayILj256EdiEEvT1_PT0_,"axG",@progbits,_ZN9rocsparseL25kernel_set_identity_arrayILj256EdiEEvT1_PT0_,comdat
	.globl	_ZN9rocsparseL25kernel_set_identity_arrayILj256EdiEEvT1_PT0_ ; -- Begin function _ZN9rocsparseL25kernel_set_identity_arrayILj256EdiEEvT1_PT0_
	.p2align	8
	.type	_ZN9rocsparseL25kernel_set_identity_arrayILj256EdiEEvT1_PT0_,@function
_ZN9rocsparseL25kernel_set_identity_arrayILj256EdiEEvT1_PT0_: ; @_ZN9rocsparseL25kernel_set_identity_arrayILj256EdiEEvT1_PT0_
; %bb.0:
	s_load_dword s0, s[4:5], 0x1c
	s_load_dword s1, s[4:5], 0x0
	s_waitcnt lgkmcnt(0)
	s_and_b32 s0, s0, 0xffff
	s_mul_i32 s6, s6, s0
	v_add_u32_e32 v0, s6, v0
	v_cmp_gt_i32_e32 vcc, s1, v0
	s_and_saveexec_b64 s[0:1], vcc
	s_cbranch_execz .LBB18_2
; %bb.1:
	s_load_dwordx2 s[0:1], s[4:5], 0x8
	v_ashrrev_i32_e32 v1, 31, v0
	v_lshlrev_b64 v[0:1], 3, v[0:1]
	v_mov_b32_e32 v3, 0x3ff00000
	s_waitcnt lgkmcnt(0)
	v_mov_b32_e32 v2, s1
	v_add_co_u32_e32 v0, vcc, s0, v0
	v_addc_co_u32_e32 v1, vcc, v2, v1, vcc
	v_mov_b32_e32 v2, 0
	global_store_dwordx2 v[0:1], v[2:3], off
.LBB18_2:
	s_endpgm
	.section	.rodata,"a",@progbits
	.p2align	6, 0x0
	.amdhsa_kernel _ZN9rocsparseL25kernel_set_identity_arrayILj256EdiEEvT1_PT0_
		.amdhsa_group_segment_fixed_size 0
		.amdhsa_private_segment_fixed_size 0
		.amdhsa_kernarg_size 272
		.amdhsa_user_sgpr_count 6
		.amdhsa_user_sgpr_private_segment_buffer 1
		.amdhsa_user_sgpr_dispatch_ptr 0
		.amdhsa_user_sgpr_queue_ptr 0
		.amdhsa_user_sgpr_kernarg_segment_ptr 1
		.amdhsa_user_sgpr_dispatch_id 0
		.amdhsa_user_sgpr_flat_scratch_init 0
		.amdhsa_user_sgpr_kernarg_preload_length 0
		.amdhsa_user_sgpr_kernarg_preload_offset 0
		.amdhsa_user_sgpr_private_segment_size 0
		.amdhsa_uses_dynamic_stack 0
		.amdhsa_system_sgpr_private_segment_wavefront_offset 0
		.amdhsa_system_sgpr_workgroup_id_x 1
		.amdhsa_system_sgpr_workgroup_id_y 0
		.amdhsa_system_sgpr_workgroup_id_z 0
		.amdhsa_system_sgpr_workgroup_info 0
		.amdhsa_system_vgpr_workitem_id 0
		.amdhsa_next_free_vgpr 4
		.amdhsa_next_free_sgpr 7
		.amdhsa_accum_offset 4
		.amdhsa_reserve_vcc 1
		.amdhsa_reserve_flat_scratch 0
		.amdhsa_float_round_mode_32 0
		.amdhsa_float_round_mode_16_64 0
		.amdhsa_float_denorm_mode_32 3
		.amdhsa_float_denorm_mode_16_64 3
		.amdhsa_dx10_clamp 1
		.amdhsa_ieee_mode 1
		.amdhsa_fp16_overflow 0
		.amdhsa_tg_split 0
		.amdhsa_exception_fp_ieee_invalid_op 0
		.amdhsa_exception_fp_denorm_src 0
		.amdhsa_exception_fp_ieee_div_zero 0
		.amdhsa_exception_fp_ieee_overflow 0
		.amdhsa_exception_fp_ieee_underflow 0
		.amdhsa_exception_fp_ieee_inexact 0
		.amdhsa_exception_int_div_zero 0
	.end_amdhsa_kernel
	.section	.text._ZN9rocsparseL25kernel_set_identity_arrayILj256EdiEEvT1_PT0_,"axG",@progbits,_ZN9rocsparseL25kernel_set_identity_arrayILj256EdiEEvT1_PT0_,comdat
.Lfunc_end18:
	.size	_ZN9rocsparseL25kernel_set_identity_arrayILj256EdiEEvT1_PT0_, .Lfunc_end18-_ZN9rocsparseL25kernel_set_identity_arrayILj256EdiEEvT1_PT0_
                                        ; -- End function
	.section	.AMDGPU.csdata,"",@progbits
; Kernel info:
; codeLenInByte = 108
; NumSgprs: 11
; NumVgprs: 4
; NumAgprs: 0
; TotalNumVgprs: 4
; ScratchSize: 0
; MemoryBound: 0
; FloatMode: 240
; IeeeMode: 1
; LDSByteSize: 0 bytes/workgroup (compile time only)
; SGPRBlocks: 1
; VGPRBlocks: 0
; NumSGPRsForWavesPerEU: 11
; NumVGPRsForWavesPerEU: 4
; AccumOffset: 4
; Occupancy: 8
; WaveLimiterHint : 0
; COMPUTE_PGM_RSRC2:SCRATCH_EN: 0
; COMPUTE_PGM_RSRC2:USER_SGPR: 6
; COMPUTE_PGM_RSRC2:TRAP_HANDLER: 0
; COMPUTE_PGM_RSRC2:TGID_X_EN: 1
; COMPUTE_PGM_RSRC2:TGID_Y_EN: 0
; COMPUTE_PGM_RSRC2:TGID_Z_EN: 0
; COMPUTE_PGM_RSRC2:TIDIG_COMP_CNT: 0
; COMPUTE_PGM_RSRC3_GFX90A:ACCUM_OFFSET: 0
; COMPUTE_PGM_RSRC3_GFX90A:TG_SPLIT: 0
	.section	.text._ZN9rocsparseL25kernel_get_permuted_arrayILj256EdiEEvT1_PKT0_PS2_PKS1_,"axG",@progbits,_ZN9rocsparseL25kernel_get_permuted_arrayILj256EdiEEvT1_PKT0_PS2_PKS1_,comdat
	.globl	_ZN9rocsparseL25kernel_get_permuted_arrayILj256EdiEEvT1_PKT0_PS2_PKS1_ ; -- Begin function _ZN9rocsparseL25kernel_get_permuted_arrayILj256EdiEEvT1_PKT0_PS2_PKS1_
	.p2align	8
	.type	_ZN9rocsparseL25kernel_get_permuted_arrayILj256EdiEEvT1_PKT0_PS2_PKS1_,@function
_ZN9rocsparseL25kernel_get_permuted_arrayILj256EdiEEvT1_PKT0_PS2_PKS1_: ; @_ZN9rocsparseL25kernel_get_permuted_arrayILj256EdiEEvT1_PKT0_PS2_PKS1_
; %bb.0:
	s_load_dword s0, s[4:5], 0x2c
	s_load_dword s1, s[4:5], 0x0
	s_waitcnt lgkmcnt(0)
	s_and_b32 s0, s0, 0xffff
	s_mul_i32 s6, s6, s0
	v_add_u32_e32 v0, s6, v0
	v_cmp_gt_i32_e32 vcc, s1, v0
	s_and_saveexec_b64 s[0:1], vcc
	s_cbranch_execz .LBB19_2
; %bb.1:
	s_load_dwordx2 s[0:1], s[4:5], 0x18
	v_ashrrev_i32_e32 v1, 31, v0
	v_lshlrev_b64 v[2:3], 2, v[0:1]
	v_lshlrev_b64 v[0:1], 3, v[0:1]
	s_waitcnt lgkmcnt(0)
	v_mov_b32_e32 v4, s1
	v_add_co_u32_e32 v2, vcc, s0, v2
	v_addc_co_u32_e32 v3, vcc, v4, v3, vcc
	global_load_dword v2, v[2:3], off
	s_load_dwordx4 s[0:3], s[4:5], 0x8
	s_waitcnt lgkmcnt(0)
	v_mov_b32_e32 v4, s1
	s_waitcnt vmcnt(0)
	v_ashrrev_i32_e32 v3, 31, v2
	v_lshlrev_b64 v[2:3], 3, v[2:3]
	v_add_co_u32_e32 v2, vcc, s0, v2
	v_addc_co_u32_e32 v3, vcc, v4, v3, vcc
	global_load_dwordx2 v[2:3], v[2:3], off
	v_mov_b32_e32 v4, s3
	v_add_co_u32_e32 v0, vcc, s2, v0
	v_addc_co_u32_e32 v1, vcc, v4, v1, vcc
	s_waitcnt vmcnt(0)
	global_store_dwordx2 v[0:1], v[2:3], off
.LBB19_2:
	s_endpgm
	.section	.rodata,"a",@progbits
	.p2align	6, 0x0
	.amdhsa_kernel _ZN9rocsparseL25kernel_get_permuted_arrayILj256EdiEEvT1_PKT0_PS2_PKS1_
		.amdhsa_group_segment_fixed_size 0
		.amdhsa_private_segment_fixed_size 0
		.amdhsa_kernarg_size 288
		.amdhsa_user_sgpr_count 6
		.amdhsa_user_sgpr_private_segment_buffer 1
		.amdhsa_user_sgpr_dispatch_ptr 0
		.amdhsa_user_sgpr_queue_ptr 0
		.amdhsa_user_sgpr_kernarg_segment_ptr 1
		.amdhsa_user_sgpr_dispatch_id 0
		.amdhsa_user_sgpr_flat_scratch_init 0
		.amdhsa_user_sgpr_kernarg_preload_length 0
		.amdhsa_user_sgpr_kernarg_preload_offset 0
		.amdhsa_user_sgpr_private_segment_size 0
		.amdhsa_uses_dynamic_stack 0
		.amdhsa_system_sgpr_private_segment_wavefront_offset 0
		.amdhsa_system_sgpr_workgroup_id_x 1
		.amdhsa_system_sgpr_workgroup_id_y 0
		.amdhsa_system_sgpr_workgroup_id_z 0
		.amdhsa_system_sgpr_workgroup_info 0
		.amdhsa_system_vgpr_workitem_id 0
		.amdhsa_next_free_vgpr 5
		.amdhsa_next_free_sgpr 7
		.amdhsa_accum_offset 8
		.amdhsa_reserve_vcc 1
		.amdhsa_reserve_flat_scratch 0
		.amdhsa_float_round_mode_32 0
		.amdhsa_float_round_mode_16_64 0
		.amdhsa_float_denorm_mode_32 3
		.amdhsa_float_denorm_mode_16_64 3
		.amdhsa_dx10_clamp 1
		.amdhsa_ieee_mode 1
		.amdhsa_fp16_overflow 0
		.amdhsa_tg_split 0
		.amdhsa_exception_fp_ieee_invalid_op 0
		.amdhsa_exception_fp_denorm_src 0
		.amdhsa_exception_fp_ieee_div_zero 0
		.amdhsa_exception_fp_ieee_overflow 0
		.amdhsa_exception_fp_ieee_underflow 0
		.amdhsa_exception_fp_ieee_inexact 0
		.amdhsa_exception_int_div_zero 0
	.end_amdhsa_kernel
	.section	.text._ZN9rocsparseL25kernel_get_permuted_arrayILj256EdiEEvT1_PKT0_PS2_PKS1_,"axG",@progbits,_ZN9rocsparseL25kernel_get_permuted_arrayILj256EdiEEvT1_PKT0_PS2_PKS1_,comdat
.Lfunc_end19:
	.size	_ZN9rocsparseL25kernel_get_permuted_arrayILj256EdiEEvT1_PKT0_PS2_PKS1_, .Lfunc_end19-_ZN9rocsparseL25kernel_get_permuted_arrayILj256EdiEEvT1_PKT0_PS2_PKS1_
                                        ; -- End function
	.section	.AMDGPU.csdata,"",@progbits
; Kernel info:
; codeLenInByte = 176
; NumSgprs: 11
; NumVgprs: 5
; NumAgprs: 0
; TotalNumVgprs: 5
; ScratchSize: 0
; MemoryBound: 0
; FloatMode: 240
; IeeeMode: 1
; LDSByteSize: 0 bytes/workgroup (compile time only)
; SGPRBlocks: 1
; VGPRBlocks: 0
; NumSGPRsForWavesPerEU: 11
; NumVGPRsForWavesPerEU: 5
; AccumOffset: 8
; Occupancy: 8
; WaveLimiterHint : 1
; COMPUTE_PGM_RSRC2:SCRATCH_EN: 0
; COMPUTE_PGM_RSRC2:USER_SGPR: 6
; COMPUTE_PGM_RSRC2:TRAP_HANDLER: 0
; COMPUTE_PGM_RSRC2:TGID_X_EN: 1
; COMPUTE_PGM_RSRC2:TGID_Y_EN: 0
; COMPUTE_PGM_RSRC2:TGID_Z_EN: 0
; COMPUTE_PGM_RSRC2:TIDIG_COMP_CNT: 0
; COMPUTE_PGM_RSRC3_GFX90A:ACCUM_OFFSET: 1
; COMPUTE_PGM_RSRC3_GFX90A:TG_SPLIT: 0
	.section	.text._ZN9rocsparseL25kernel_set_permuted_arrayILj256EdiEEvT1_PT0_PKS2_PKS1_,"axG",@progbits,_ZN9rocsparseL25kernel_set_permuted_arrayILj256EdiEEvT1_PT0_PKS2_PKS1_,comdat
	.globl	_ZN9rocsparseL25kernel_set_permuted_arrayILj256EdiEEvT1_PT0_PKS2_PKS1_ ; -- Begin function _ZN9rocsparseL25kernel_set_permuted_arrayILj256EdiEEvT1_PT0_PKS2_PKS1_
	.p2align	8
	.type	_ZN9rocsparseL25kernel_set_permuted_arrayILj256EdiEEvT1_PT0_PKS2_PKS1_,@function
_ZN9rocsparseL25kernel_set_permuted_arrayILj256EdiEEvT1_PT0_PKS2_PKS1_: ; @_ZN9rocsparseL25kernel_set_permuted_arrayILj256EdiEEvT1_PT0_PKS2_PKS1_
; %bb.0:
	s_load_dword s0, s[4:5], 0x2c
	s_load_dword s1, s[4:5], 0x0
	s_waitcnt lgkmcnt(0)
	s_and_b32 s0, s0, 0xffff
	s_mul_i32 s6, s6, s0
	v_add_u32_e32 v0, s6, v0
	v_cmp_gt_i32_e32 vcc, s1, v0
	s_and_saveexec_b64 s[0:1], vcc
	s_cbranch_execz .LBB20_2
; %bb.1:
	s_load_dwordx2 s[6:7], s[4:5], 0x18
	s_load_dwordx4 s[0:3], s[4:5], 0x8
	v_ashrrev_i32_e32 v1, 31, v0
	v_lshlrev_b64 v[2:3], 3, v[0:1]
	v_lshlrev_b64 v[0:1], 2, v[0:1]
	s_waitcnt lgkmcnt(0)
	v_mov_b32_e32 v4, s7
	v_add_co_u32_e32 v0, vcc, s6, v0
	v_addc_co_u32_e32 v1, vcc, v4, v1, vcc
	global_load_dword v0, v[0:1], off
	v_mov_b32_e32 v1, s3
	v_add_co_u32_e32 v2, vcc, s2, v2
	v_addc_co_u32_e32 v3, vcc, v1, v3, vcc
	global_load_dwordx2 v[2:3], v[2:3], off
	v_mov_b32_e32 v4, s1
	s_waitcnt vmcnt(1)
	v_ashrrev_i32_e32 v1, 31, v0
	v_lshlrev_b64 v[0:1], 3, v[0:1]
	v_add_co_u32_e32 v0, vcc, s0, v0
	v_addc_co_u32_e32 v1, vcc, v4, v1, vcc
	s_waitcnt vmcnt(0)
	global_store_dwordx2 v[0:1], v[2:3], off
.LBB20_2:
	s_endpgm
	.section	.rodata,"a",@progbits
	.p2align	6, 0x0
	.amdhsa_kernel _ZN9rocsparseL25kernel_set_permuted_arrayILj256EdiEEvT1_PT0_PKS2_PKS1_
		.amdhsa_group_segment_fixed_size 0
		.amdhsa_private_segment_fixed_size 0
		.amdhsa_kernarg_size 288
		.amdhsa_user_sgpr_count 6
		.amdhsa_user_sgpr_private_segment_buffer 1
		.amdhsa_user_sgpr_dispatch_ptr 0
		.amdhsa_user_sgpr_queue_ptr 0
		.amdhsa_user_sgpr_kernarg_segment_ptr 1
		.amdhsa_user_sgpr_dispatch_id 0
		.amdhsa_user_sgpr_flat_scratch_init 0
		.amdhsa_user_sgpr_kernarg_preload_length 0
		.amdhsa_user_sgpr_kernarg_preload_offset 0
		.amdhsa_user_sgpr_private_segment_size 0
		.amdhsa_uses_dynamic_stack 0
		.amdhsa_system_sgpr_private_segment_wavefront_offset 0
		.amdhsa_system_sgpr_workgroup_id_x 1
		.amdhsa_system_sgpr_workgroup_id_y 0
		.amdhsa_system_sgpr_workgroup_id_z 0
		.amdhsa_system_sgpr_workgroup_info 0
		.amdhsa_system_vgpr_workitem_id 0
		.amdhsa_next_free_vgpr 5
		.amdhsa_next_free_sgpr 8
		.amdhsa_accum_offset 8
		.amdhsa_reserve_vcc 1
		.amdhsa_reserve_flat_scratch 0
		.amdhsa_float_round_mode_32 0
		.amdhsa_float_round_mode_16_64 0
		.amdhsa_float_denorm_mode_32 3
		.amdhsa_float_denorm_mode_16_64 3
		.amdhsa_dx10_clamp 1
		.amdhsa_ieee_mode 1
		.amdhsa_fp16_overflow 0
		.amdhsa_tg_split 0
		.amdhsa_exception_fp_ieee_invalid_op 0
		.amdhsa_exception_fp_denorm_src 0
		.amdhsa_exception_fp_ieee_div_zero 0
		.amdhsa_exception_fp_ieee_overflow 0
		.amdhsa_exception_fp_ieee_underflow 0
		.amdhsa_exception_fp_ieee_inexact 0
		.amdhsa_exception_int_div_zero 0
	.end_amdhsa_kernel
	.section	.text._ZN9rocsparseL25kernel_set_permuted_arrayILj256EdiEEvT1_PT0_PKS2_PKS1_,"axG",@progbits,_ZN9rocsparseL25kernel_set_permuted_arrayILj256EdiEEvT1_PT0_PKS2_PKS1_,comdat
.Lfunc_end20:
	.size	_ZN9rocsparseL25kernel_set_permuted_arrayILj256EdiEEvT1_PT0_PKS2_PKS1_, .Lfunc_end20-_ZN9rocsparseL25kernel_set_permuted_arrayILj256EdiEEvT1_PT0_PKS2_PKS1_
                                        ; -- End function
	.section	.AMDGPU.csdata,"",@progbits
; Kernel info:
; codeLenInByte = 172
; NumSgprs: 12
; NumVgprs: 5
; NumAgprs: 0
; TotalNumVgprs: 5
; ScratchSize: 0
; MemoryBound: 0
; FloatMode: 240
; IeeeMode: 1
; LDSByteSize: 0 bytes/workgroup (compile time only)
; SGPRBlocks: 1
; VGPRBlocks: 0
; NumSGPRsForWavesPerEU: 12
; NumVGPRsForWavesPerEU: 5
; AccumOffset: 8
; Occupancy: 8
; WaveLimiterHint : 1
; COMPUTE_PGM_RSRC2:SCRATCH_EN: 0
; COMPUTE_PGM_RSRC2:USER_SGPR: 6
; COMPUTE_PGM_RSRC2:TRAP_HANDLER: 0
; COMPUTE_PGM_RSRC2:TGID_X_EN: 1
; COMPUTE_PGM_RSRC2:TGID_Y_EN: 0
; COMPUTE_PGM_RSRC2:TGID_Z_EN: 0
; COMPUTE_PGM_RSRC2:TIDIG_COMP_CNT: 0
; COMPUTE_PGM_RSRC3_GFX90A:ACCUM_OFFSET: 1
; COMPUTE_PGM_RSRC3_GFX90A:TG_SPLIT: 0
	.section	.text._ZN9rocsparseL25kernel_set_identity_arrayILj256E21rocsparse_complex_numIfEiEEvT1_PT0_,"axG",@progbits,_ZN9rocsparseL25kernel_set_identity_arrayILj256E21rocsparse_complex_numIfEiEEvT1_PT0_,comdat
	.globl	_ZN9rocsparseL25kernel_set_identity_arrayILj256E21rocsparse_complex_numIfEiEEvT1_PT0_ ; -- Begin function _ZN9rocsparseL25kernel_set_identity_arrayILj256E21rocsparse_complex_numIfEiEEvT1_PT0_
	.p2align	8
	.type	_ZN9rocsparseL25kernel_set_identity_arrayILj256E21rocsparse_complex_numIfEiEEvT1_PT0_,@function
_ZN9rocsparseL25kernel_set_identity_arrayILj256E21rocsparse_complex_numIfEiEEvT1_PT0_: ; @_ZN9rocsparseL25kernel_set_identity_arrayILj256E21rocsparse_complex_numIfEiEEvT1_PT0_
; %bb.0:
	s_load_dword s0, s[4:5], 0x1c
	s_load_dword s1, s[4:5], 0x0
	s_waitcnt lgkmcnt(0)
	s_and_b32 s0, s0, 0xffff
	s_mul_i32 s6, s6, s0
	v_add_u32_e32 v0, s6, v0
	v_cmp_gt_i32_e32 vcc, s1, v0
	s_and_saveexec_b64 s[0:1], vcc
	s_cbranch_execz .LBB21_2
; %bb.1:
	s_load_dwordx2 s[0:1], s[4:5], 0x8
	v_ashrrev_i32_e32 v1, 31, v0
	v_lshlrev_b64 v[0:1], 3, v[0:1]
	v_mov_b32_e32 v3, 0
	s_waitcnt lgkmcnt(0)
	v_mov_b32_e32 v2, s1
	v_add_co_u32_e32 v0, vcc, s0, v0
	v_addc_co_u32_e32 v1, vcc, v2, v1, vcc
	v_mov_b32_e32 v2, 1.0
	global_store_dwordx2 v[0:1], v[2:3], off
.LBB21_2:
	s_endpgm
	.section	.rodata,"a",@progbits
	.p2align	6, 0x0
	.amdhsa_kernel _ZN9rocsparseL25kernel_set_identity_arrayILj256E21rocsparse_complex_numIfEiEEvT1_PT0_
		.amdhsa_group_segment_fixed_size 0
		.amdhsa_private_segment_fixed_size 0
		.amdhsa_kernarg_size 272
		.amdhsa_user_sgpr_count 6
		.amdhsa_user_sgpr_private_segment_buffer 1
		.amdhsa_user_sgpr_dispatch_ptr 0
		.amdhsa_user_sgpr_queue_ptr 0
		.amdhsa_user_sgpr_kernarg_segment_ptr 1
		.amdhsa_user_sgpr_dispatch_id 0
		.amdhsa_user_sgpr_flat_scratch_init 0
		.amdhsa_user_sgpr_kernarg_preload_length 0
		.amdhsa_user_sgpr_kernarg_preload_offset 0
		.amdhsa_user_sgpr_private_segment_size 0
		.amdhsa_uses_dynamic_stack 0
		.amdhsa_system_sgpr_private_segment_wavefront_offset 0
		.amdhsa_system_sgpr_workgroup_id_x 1
		.amdhsa_system_sgpr_workgroup_id_y 0
		.amdhsa_system_sgpr_workgroup_id_z 0
		.amdhsa_system_sgpr_workgroup_info 0
		.amdhsa_system_vgpr_workitem_id 0
		.amdhsa_next_free_vgpr 4
		.amdhsa_next_free_sgpr 7
		.amdhsa_accum_offset 4
		.amdhsa_reserve_vcc 1
		.amdhsa_reserve_flat_scratch 0
		.amdhsa_float_round_mode_32 0
		.amdhsa_float_round_mode_16_64 0
		.amdhsa_float_denorm_mode_32 3
		.amdhsa_float_denorm_mode_16_64 3
		.amdhsa_dx10_clamp 1
		.amdhsa_ieee_mode 1
		.amdhsa_fp16_overflow 0
		.amdhsa_tg_split 0
		.amdhsa_exception_fp_ieee_invalid_op 0
		.amdhsa_exception_fp_denorm_src 0
		.amdhsa_exception_fp_ieee_div_zero 0
		.amdhsa_exception_fp_ieee_overflow 0
		.amdhsa_exception_fp_ieee_underflow 0
		.amdhsa_exception_fp_ieee_inexact 0
		.amdhsa_exception_int_div_zero 0
	.end_amdhsa_kernel
	.section	.text._ZN9rocsparseL25kernel_set_identity_arrayILj256E21rocsparse_complex_numIfEiEEvT1_PT0_,"axG",@progbits,_ZN9rocsparseL25kernel_set_identity_arrayILj256E21rocsparse_complex_numIfEiEEvT1_PT0_,comdat
.Lfunc_end21:
	.size	_ZN9rocsparseL25kernel_set_identity_arrayILj256E21rocsparse_complex_numIfEiEEvT1_PT0_, .Lfunc_end21-_ZN9rocsparseL25kernel_set_identity_arrayILj256E21rocsparse_complex_numIfEiEEvT1_PT0_
                                        ; -- End function
	.section	.AMDGPU.csdata,"",@progbits
; Kernel info:
; codeLenInByte = 104
; NumSgprs: 11
; NumVgprs: 4
; NumAgprs: 0
; TotalNumVgprs: 4
; ScratchSize: 0
; MemoryBound: 0
; FloatMode: 240
; IeeeMode: 1
; LDSByteSize: 0 bytes/workgroup (compile time only)
; SGPRBlocks: 1
; VGPRBlocks: 0
; NumSGPRsForWavesPerEU: 11
; NumVGPRsForWavesPerEU: 4
; AccumOffset: 4
; Occupancy: 8
; WaveLimiterHint : 0
; COMPUTE_PGM_RSRC2:SCRATCH_EN: 0
; COMPUTE_PGM_RSRC2:USER_SGPR: 6
; COMPUTE_PGM_RSRC2:TRAP_HANDLER: 0
; COMPUTE_PGM_RSRC2:TGID_X_EN: 1
; COMPUTE_PGM_RSRC2:TGID_Y_EN: 0
; COMPUTE_PGM_RSRC2:TGID_Z_EN: 0
; COMPUTE_PGM_RSRC2:TIDIG_COMP_CNT: 0
; COMPUTE_PGM_RSRC3_GFX90A:ACCUM_OFFSET: 0
; COMPUTE_PGM_RSRC3_GFX90A:TG_SPLIT: 0
	.section	.text._ZN9rocsparseL25kernel_get_permuted_arrayILj256E21rocsparse_complex_numIfEiEEvT1_PKT0_PS4_PKS3_,"axG",@progbits,_ZN9rocsparseL25kernel_get_permuted_arrayILj256E21rocsparse_complex_numIfEiEEvT1_PKT0_PS4_PKS3_,comdat
	.globl	_ZN9rocsparseL25kernel_get_permuted_arrayILj256E21rocsparse_complex_numIfEiEEvT1_PKT0_PS4_PKS3_ ; -- Begin function _ZN9rocsparseL25kernel_get_permuted_arrayILj256E21rocsparse_complex_numIfEiEEvT1_PKT0_PS4_PKS3_
	.p2align	8
	.type	_ZN9rocsparseL25kernel_get_permuted_arrayILj256E21rocsparse_complex_numIfEiEEvT1_PKT0_PS4_PKS3_,@function
_ZN9rocsparseL25kernel_get_permuted_arrayILj256E21rocsparse_complex_numIfEiEEvT1_PKT0_PS4_PKS3_: ; @_ZN9rocsparseL25kernel_get_permuted_arrayILj256E21rocsparse_complex_numIfEiEEvT1_PKT0_PS4_PKS3_
; %bb.0:
	s_load_dword s0, s[4:5], 0x2c
	s_load_dword s1, s[4:5], 0x0
	s_waitcnt lgkmcnt(0)
	s_and_b32 s0, s0, 0xffff
	s_mul_i32 s6, s6, s0
	v_add_u32_e32 v0, s6, v0
	v_cmp_gt_i32_e32 vcc, s1, v0
	s_and_saveexec_b64 s[0:1], vcc
	s_cbranch_execz .LBB22_2
; %bb.1:
	s_load_dwordx2 s[0:1], s[4:5], 0x18
	v_ashrrev_i32_e32 v1, 31, v0
	v_lshlrev_b64 v[2:3], 2, v[0:1]
	v_lshlrev_b64 v[0:1], 3, v[0:1]
	s_waitcnt lgkmcnt(0)
	v_mov_b32_e32 v4, s1
	v_add_co_u32_e32 v2, vcc, s0, v2
	v_addc_co_u32_e32 v3, vcc, v4, v3, vcc
	global_load_dword v2, v[2:3], off
	s_load_dwordx4 s[0:3], s[4:5], 0x8
	s_waitcnt lgkmcnt(0)
	v_mov_b32_e32 v4, s1
	s_waitcnt vmcnt(0)
	v_ashrrev_i32_e32 v3, 31, v2
	v_lshlrev_b64 v[2:3], 3, v[2:3]
	v_add_co_u32_e32 v2, vcc, s0, v2
	v_addc_co_u32_e32 v3, vcc, v4, v3, vcc
	global_load_dwordx2 v[2:3], v[2:3], off
	v_mov_b32_e32 v4, s3
	v_add_co_u32_e32 v0, vcc, s2, v0
	v_addc_co_u32_e32 v1, vcc, v4, v1, vcc
	s_waitcnt vmcnt(0)
	global_store_dwordx2 v[0:1], v[2:3], off
.LBB22_2:
	s_endpgm
	.section	.rodata,"a",@progbits
	.p2align	6, 0x0
	.amdhsa_kernel _ZN9rocsparseL25kernel_get_permuted_arrayILj256E21rocsparse_complex_numIfEiEEvT1_PKT0_PS4_PKS3_
		.amdhsa_group_segment_fixed_size 0
		.amdhsa_private_segment_fixed_size 0
		.amdhsa_kernarg_size 288
		.amdhsa_user_sgpr_count 6
		.amdhsa_user_sgpr_private_segment_buffer 1
		.amdhsa_user_sgpr_dispatch_ptr 0
		.amdhsa_user_sgpr_queue_ptr 0
		.amdhsa_user_sgpr_kernarg_segment_ptr 1
		.amdhsa_user_sgpr_dispatch_id 0
		.amdhsa_user_sgpr_flat_scratch_init 0
		.amdhsa_user_sgpr_kernarg_preload_length 0
		.amdhsa_user_sgpr_kernarg_preload_offset 0
		.amdhsa_user_sgpr_private_segment_size 0
		.amdhsa_uses_dynamic_stack 0
		.amdhsa_system_sgpr_private_segment_wavefront_offset 0
		.amdhsa_system_sgpr_workgroup_id_x 1
		.amdhsa_system_sgpr_workgroup_id_y 0
		.amdhsa_system_sgpr_workgroup_id_z 0
		.amdhsa_system_sgpr_workgroup_info 0
		.amdhsa_system_vgpr_workitem_id 0
		.amdhsa_next_free_vgpr 5
		.amdhsa_next_free_sgpr 7
		.amdhsa_accum_offset 8
		.amdhsa_reserve_vcc 1
		.amdhsa_reserve_flat_scratch 0
		.amdhsa_float_round_mode_32 0
		.amdhsa_float_round_mode_16_64 0
		.amdhsa_float_denorm_mode_32 3
		.amdhsa_float_denorm_mode_16_64 3
		.amdhsa_dx10_clamp 1
		.amdhsa_ieee_mode 1
		.amdhsa_fp16_overflow 0
		.amdhsa_tg_split 0
		.amdhsa_exception_fp_ieee_invalid_op 0
		.amdhsa_exception_fp_denorm_src 0
		.amdhsa_exception_fp_ieee_div_zero 0
		.amdhsa_exception_fp_ieee_overflow 0
		.amdhsa_exception_fp_ieee_underflow 0
		.amdhsa_exception_fp_ieee_inexact 0
		.amdhsa_exception_int_div_zero 0
	.end_amdhsa_kernel
	.section	.text._ZN9rocsparseL25kernel_get_permuted_arrayILj256E21rocsparse_complex_numIfEiEEvT1_PKT0_PS4_PKS3_,"axG",@progbits,_ZN9rocsparseL25kernel_get_permuted_arrayILj256E21rocsparse_complex_numIfEiEEvT1_PKT0_PS4_PKS3_,comdat
.Lfunc_end22:
	.size	_ZN9rocsparseL25kernel_get_permuted_arrayILj256E21rocsparse_complex_numIfEiEEvT1_PKT0_PS4_PKS3_, .Lfunc_end22-_ZN9rocsparseL25kernel_get_permuted_arrayILj256E21rocsparse_complex_numIfEiEEvT1_PKT0_PS4_PKS3_
                                        ; -- End function
	.section	.AMDGPU.csdata,"",@progbits
; Kernel info:
; codeLenInByte = 176
; NumSgprs: 11
; NumVgprs: 5
; NumAgprs: 0
; TotalNumVgprs: 5
; ScratchSize: 0
; MemoryBound: 0
; FloatMode: 240
; IeeeMode: 1
; LDSByteSize: 0 bytes/workgroup (compile time only)
; SGPRBlocks: 1
; VGPRBlocks: 0
; NumSGPRsForWavesPerEU: 11
; NumVGPRsForWavesPerEU: 5
; AccumOffset: 8
; Occupancy: 8
; WaveLimiterHint : 1
; COMPUTE_PGM_RSRC2:SCRATCH_EN: 0
; COMPUTE_PGM_RSRC2:USER_SGPR: 6
; COMPUTE_PGM_RSRC2:TRAP_HANDLER: 0
; COMPUTE_PGM_RSRC2:TGID_X_EN: 1
; COMPUTE_PGM_RSRC2:TGID_Y_EN: 0
; COMPUTE_PGM_RSRC2:TGID_Z_EN: 0
; COMPUTE_PGM_RSRC2:TIDIG_COMP_CNT: 0
; COMPUTE_PGM_RSRC3_GFX90A:ACCUM_OFFSET: 1
; COMPUTE_PGM_RSRC3_GFX90A:TG_SPLIT: 0
	.section	.text._ZN9rocsparseL25kernel_set_permuted_arrayILj256E21rocsparse_complex_numIfEiEEvT1_PT0_PKS4_PKS3_,"axG",@progbits,_ZN9rocsparseL25kernel_set_permuted_arrayILj256E21rocsparse_complex_numIfEiEEvT1_PT0_PKS4_PKS3_,comdat
	.globl	_ZN9rocsparseL25kernel_set_permuted_arrayILj256E21rocsparse_complex_numIfEiEEvT1_PT0_PKS4_PKS3_ ; -- Begin function _ZN9rocsparseL25kernel_set_permuted_arrayILj256E21rocsparse_complex_numIfEiEEvT1_PT0_PKS4_PKS3_
	.p2align	8
	.type	_ZN9rocsparseL25kernel_set_permuted_arrayILj256E21rocsparse_complex_numIfEiEEvT1_PT0_PKS4_PKS3_,@function
_ZN9rocsparseL25kernel_set_permuted_arrayILj256E21rocsparse_complex_numIfEiEEvT1_PT0_PKS4_PKS3_: ; @_ZN9rocsparseL25kernel_set_permuted_arrayILj256E21rocsparse_complex_numIfEiEEvT1_PT0_PKS4_PKS3_
; %bb.0:
	s_load_dword s0, s[4:5], 0x2c
	s_load_dword s1, s[4:5], 0x0
	s_waitcnt lgkmcnt(0)
	s_and_b32 s0, s0, 0xffff
	s_mul_i32 s6, s6, s0
	v_add_u32_e32 v0, s6, v0
	v_cmp_gt_i32_e32 vcc, s1, v0
	s_and_saveexec_b64 s[0:1], vcc
	s_cbranch_execz .LBB23_2
; %bb.1:
	s_load_dwordx2 s[6:7], s[4:5], 0x18
	s_load_dwordx4 s[0:3], s[4:5], 0x8
	v_ashrrev_i32_e32 v1, 31, v0
	v_lshlrev_b64 v[2:3], 3, v[0:1]
	v_lshlrev_b64 v[0:1], 2, v[0:1]
	s_waitcnt lgkmcnt(0)
	v_mov_b32_e32 v4, s7
	v_add_co_u32_e32 v0, vcc, s6, v0
	v_addc_co_u32_e32 v1, vcc, v4, v1, vcc
	global_load_dword v0, v[0:1], off
	v_mov_b32_e32 v1, s3
	v_add_co_u32_e32 v2, vcc, s2, v2
	v_addc_co_u32_e32 v3, vcc, v1, v3, vcc
	global_load_dwordx2 v[2:3], v[2:3], off
	v_mov_b32_e32 v4, s1
	s_waitcnt vmcnt(1)
	v_ashrrev_i32_e32 v1, 31, v0
	v_lshlrev_b64 v[0:1], 3, v[0:1]
	v_add_co_u32_e32 v0, vcc, s0, v0
	v_addc_co_u32_e32 v1, vcc, v4, v1, vcc
	s_waitcnt vmcnt(0)
	global_store_dwordx2 v[0:1], v[2:3], off
.LBB23_2:
	s_endpgm
	.section	.rodata,"a",@progbits
	.p2align	6, 0x0
	.amdhsa_kernel _ZN9rocsparseL25kernel_set_permuted_arrayILj256E21rocsparse_complex_numIfEiEEvT1_PT0_PKS4_PKS3_
		.amdhsa_group_segment_fixed_size 0
		.amdhsa_private_segment_fixed_size 0
		.amdhsa_kernarg_size 288
		.amdhsa_user_sgpr_count 6
		.amdhsa_user_sgpr_private_segment_buffer 1
		.amdhsa_user_sgpr_dispatch_ptr 0
		.amdhsa_user_sgpr_queue_ptr 0
		.amdhsa_user_sgpr_kernarg_segment_ptr 1
		.amdhsa_user_sgpr_dispatch_id 0
		.amdhsa_user_sgpr_flat_scratch_init 0
		.amdhsa_user_sgpr_kernarg_preload_length 0
		.amdhsa_user_sgpr_kernarg_preload_offset 0
		.amdhsa_user_sgpr_private_segment_size 0
		.amdhsa_uses_dynamic_stack 0
		.amdhsa_system_sgpr_private_segment_wavefront_offset 0
		.amdhsa_system_sgpr_workgroup_id_x 1
		.amdhsa_system_sgpr_workgroup_id_y 0
		.amdhsa_system_sgpr_workgroup_id_z 0
		.amdhsa_system_sgpr_workgroup_info 0
		.amdhsa_system_vgpr_workitem_id 0
		.amdhsa_next_free_vgpr 5
		.amdhsa_next_free_sgpr 8
		.amdhsa_accum_offset 8
		.amdhsa_reserve_vcc 1
		.amdhsa_reserve_flat_scratch 0
		.amdhsa_float_round_mode_32 0
		.amdhsa_float_round_mode_16_64 0
		.amdhsa_float_denorm_mode_32 3
		.amdhsa_float_denorm_mode_16_64 3
		.amdhsa_dx10_clamp 1
		.amdhsa_ieee_mode 1
		.amdhsa_fp16_overflow 0
		.amdhsa_tg_split 0
		.amdhsa_exception_fp_ieee_invalid_op 0
		.amdhsa_exception_fp_denorm_src 0
		.amdhsa_exception_fp_ieee_div_zero 0
		.amdhsa_exception_fp_ieee_overflow 0
		.amdhsa_exception_fp_ieee_underflow 0
		.amdhsa_exception_fp_ieee_inexact 0
		.amdhsa_exception_int_div_zero 0
	.end_amdhsa_kernel
	.section	.text._ZN9rocsparseL25kernel_set_permuted_arrayILj256E21rocsparse_complex_numIfEiEEvT1_PT0_PKS4_PKS3_,"axG",@progbits,_ZN9rocsparseL25kernel_set_permuted_arrayILj256E21rocsparse_complex_numIfEiEEvT1_PT0_PKS4_PKS3_,comdat
.Lfunc_end23:
	.size	_ZN9rocsparseL25kernel_set_permuted_arrayILj256E21rocsparse_complex_numIfEiEEvT1_PT0_PKS4_PKS3_, .Lfunc_end23-_ZN9rocsparseL25kernel_set_permuted_arrayILj256E21rocsparse_complex_numIfEiEEvT1_PT0_PKS4_PKS3_
                                        ; -- End function
	.section	.AMDGPU.csdata,"",@progbits
; Kernel info:
; codeLenInByte = 172
; NumSgprs: 12
; NumVgprs: 5
; NumAgprs: 0
; TotalNumVgprs: 5
; ScratchSize: 0
; MemoryBound: 0
; FloatMode: 240
; IeeeMode: 1
; LDSByteSize: 0 bytes/workgroup (compile time only)
; SGPRBlocks: 1
; VGPRBlocks: 0
; NumSGPRsForWavesPerEU: 12
; NumVGPRsForWavesPerEU: 5
; AccumOffset: 8
; Occupancy: 8
; WaveLimiterHint : 1
; COMPUTE_PGM_RSRC2:SCRATCH_EN: 0
; COMPUTE_PGM_RSRC2:USER_SGPR: 6
; COMPUTE_PGM_RSRC2:TRAP_HANDLER: 0
; COMPUTE_PGM_RSRC2:TGID_X_EN: 1
; COMPUTE_PGM_RSRC2:TGID_Y_EN: 0
; COMPUTE_PGM_RSRC2:TGID_Z_EN: 0
; COMPUTE_PGM_RSRC2:TIDIG_COMP_CNT: 0
; COMPUTE_PGM_RSRC3_GFX90A:ACCUM_OFFSET: 1
; COMPUTE_PGM_RSRC3_GFX90A:TG_SPLIT: 0
	.section	.text._ZN9rocsparseL25kernel_set_identity_arrayILj256E21rocsparse_complex_numIdEiEEvT1_PT0_,"axG",@progbits,_ZN9rocsparseL25kernel_set_identity_arrayILj256E21rocsparse_complex_numIdEiEEvT1_PT0_,comdat
	.globl	_ZN9rocsparseL25kernel_set_identity_arrayILj256E21rocsparse_complex_numIdEiEEvT1_PT0_ ; -- Begin function _ZN9rocsparseL25kernel_set_identity_arrayILj256E21rocsparse_complex_numIdEiEEvT1_PT0_
	.p2align	8
	.type	_ZN9rocsparseL25kernel_set_identity_arrayILj256E21rocsparse_complex_numIdEiEEvT1_PT0_,@function
_ZN9rocsparseL25kernel_set_identity_arrayILj256E21rocsparse_complex_numIdEiEEvT1_PT0_: ; @_ZN9rocsparseL25kernel_set_identity_arrayILj256E21rocsparse_complex_numIdEiEEvT1_PT0_
; %bb.0:
	s_load_dword s0, s[4:5], 0x1c
	s_load_dword s1, s[4:5], 0x0
	s_waitcnt lgkmcnt(0)
	s_and_b32 s0, s0, 0xffff
	s_mul_i32 s6, s6, s0
	v_add_u32_e32 v0, s6, v0
	v_cmp_gt_i32_e32 vcc, s1, v0
	s_and_saveexec_b64 s[0:1], vcc
	s_cbranch_execz .LBB24_2
; %bb.1:
	s_load_dwordx2 s[0:1], s[4:5], 0x8
	v_ashrrev_i32_e32 v1, 31, v0
	v_lshlrev_b64 v[0:1], 4, v[0:1]
	s_waitcnt lgkmcnt(0)
	v_mov_b32_e32 v2, s1
	v_add_co_u32_e32 v4, vcc, s0, v0
	v_mov_b32_e32 v0, 0
	v_addc_co_u32_e32 v5, vcc, v2, v1, vcc
	v_mov_b32_e32 v1, 0x3ff00000
	v_mov_b32_e32 v2, v0
	v_mov_b32_e32 v3, v0
	global_store_dwordx4 v[4:5], v[0:3], off
.LBB24_2:
	s_endpgm
	.section	.rodata,"a",@progbits
	.p2align	6, 0x0
	.amdhsa_kernel _ZN9rocsparseL25kernel_set_identity_arrayILj256E21rocsparse_complex_numIdEiEEvT1_PT0_
		.amdhsa_group_segment_fixed_size 0
		.amdhsa_private_segment_fixed_size 0
		.amdhsa_kernarg_size 272
		.amdhsa_user_sgpr_count 6
		.amdhsa_user_sgpr_private_segment_buffer 1
		.amdhsa_user_sgpr_dispatch_ptr 0
		.amdhsa_user_sgpr_queue_ptr 0
		.amdhsa_user_sgpr_kernarg_segment_ptr 1
		.amdhsa_user_sgpr_dispatch_id 0
		.amdhsa_user_sgpr_flat_scratch_init 0
		.amdhsa_user_sgpr_kernarg_preload_length 0
		.amdhsa_user_sgpr_kernarg_preload_offset 0
		.amdhsa_user_sgpr_private_segment_size 0
		.amdhsa_uses_dynamic_stack 0
		.amdhsa_system_sgpr_private_segment_wavefront_offset 0
		.amdhsa_system_sgpr_workgroup_id_x 1
		.amdhsa_system_sgpr_workgroup_id_y 0
		.amdhsa_system_sgpr_workgroup_id_z 0
		.amdhsa_system_sgpr_workgroup_info 0
		.amdhsa_system_vgpr_workitem_id 0
		.amdhsa_next_free_vgpr 6
		.amdhsa_next_free_sgpr 7
		.amdhsa_accum_offset 8
		.amdhsa_reserve_vcc 1
		.amdhsa_reserve_flat_scratch 0
		.amdhsa_float_round_mode_32 0
		.amdhsa_float_round_mode_16_64 0
		.amdhsa_float_denorm_mode_32 3
		.amdhsa_float_denorm_mode_16_64 3
		.amdhsa_dx10_clamp 1
		.amdhsa_ieee_mode 1
		.amdhsa_fp16_overflow 0
		.amdhsa_tg_split 0
		.amdhsa_exception_fp_ieee_invalid_op 0
		.amdhsa_exception_fp_denorm_src 0
		.amdhsa_exception_fp_ieee_div_zero 0
		.amdhsa_exception_fp_ieee_overflow 0
		.amdhsa_exception_fp_ieee_underflow 0
		.amdhsa_exception_fp_ieee_inexact 0
		.amdhsa_exception_int_div_zero 0
	.end_amdhsa_kernel
	.section	.text._ZN9rocsparseL25kernel_set_identity_arrayILj256E21rocsparse_complex_numIdEiEEvT1_PT0_,"axG",@progbits,_ZN9rocsparseL25kernel_set_identity_arrayILj256E21rocsparse_complex_numIdEiEEvT1_PT0_,comdat
.Lfunc_end24:
	.size	_ZN9rocsparseL25kernel_set_identity_arrayILj256E21rocsparse_complex_numIdEiEEvT1_PT0_, .Lfunc_end24-_ZN9rocsparseL25kernel_set_identity_arrayILj256E21rocsparse_complex_numIdEiEEvT1_PT0_
                                        ; -- End function
	.section	.AMDGPU.csdata,"",@progbits
; Kernel info:
; codeLenInByte = 116
; NumSgprs: 11
; NumVgprs: 6
; NumAgprs: 0
; TotalNumVgprs: 6
; ScratchSize: 0
; MemoryBound: 0
; FloatMode: 240
; IeeeMode: 1
; LDSByteSize: 0 bytes/workgroup (compile time only)
; SGPRBlocks: 1
; VGPRBlocks: 0
; NumSGPRsForWavesPerEU: 11
; NumVGPRsForWavesPerEU: 6
; AccumOffset: 8
; Occupancy: 8
; WaveLimiterHint : 0
; COMPUTE_PGM_RSRC2:SCRATCH_EN: 0
; COMPUTE_PGM_RSRC2:USER_SGPR: 6
; COMPUTE_PGM_RSRC2:TRAP_HANDLER: 0
; COMPUTE_PGM_RSRC2:TGID_X_EN: 1
; COMPUTE_PGM_RSRC2:TGID_Y_EN: 0
; COMPUTE_PGM_RSRC2:TGID_Z_EN: 0
; COMPUTE_PGM_RSRC2:TIDIG_COMP_CNT: 0
; COMPUTE_PGM_RSRC3_GFX90A:ACCUM_OFFSET: 1
; COMPUTE_PGM_RSRC3_GFX90A:TG_SPLIT: 0
	.section	.text._ZN9rocsparseL25kernel_get_permuted_arrayILj256E21rocsparse_complex_numIdEiEEvT1_PKT0_PS4_PKS3_,"axG",@progbits,_ZN9rocsparseL25kernel_get_permuted_arrayILj256E21rocsparse_complex_numIdEiEEvT1_PKT0_PS4_PKS3_,comdat
	.globl	_ZN9rocsparseL25kernel_get_permuted_arrayILj256E21rocsparse_complex_numIdEiEEvT1_PKT0_PS4_PKS3_ ; -- Begin function _ZN9rocsparseL25kernel_get_permuted_arrayILj256E21rocsparse_complex_numIdEiEEvT1_PKT0_PS4_PKS3_
	.p2align	8
	.type	_ZN9rocsparseL25kernel_get_permuted_arrayILj256E21rocsparse_complex_numIdEiEEvT1_PKT0_PS4_PKS3_,@function
_ZN9rocsparseL25kernel_get_permuted_arrayILj256E21rocsparse_complex_numIdEiEEvT1_PKT0_PS4_PKS3_: ; @_ZN9rocsparseL25kernel_get_permuted_arrayILj256E21rocsparse_complex_numIdEiEEvT1_PKT0_PS4_PKS3_
; %bb.0:
	s_load_dword s0, s[4:5], 0x2c
	s_load_dword s1, s[4:5], 0x0
	s_waitcnt lgkmcnt(0)
	s_and_b32 s0, s0, 0xffff
	s_mul_i32 s6, s6, s0
	v_add_u32_e32 v0, s6, v0
	v_cmp_gt_i32_e32 vcc, s1, v0
	s_and_saveexec_b64 s[0:1], vcc
	s_cbranch_execz .LBB25_2
; %bb.1:
	s_load_dwordx2 s[0:1], s[4:5], 0x18
	v_ashrrev_i32_e32 v1, 31, v0
	v_lshlrev_b64 v[2:3], 2, v[0:1]
	v_lshlrev_b64 v[0:1], 4, v[0:1]
	s_waitcnt lgkmcnt(0)
	v_mov_b32_e32 v4, s1
	v_add_co_u32_e32 v2, vcc, s0, v2
	v_addc_co_u32_e32 v3, vcc, v4, v3, vcc
	global_load_dword v2, v[2:3], off
	s_load_dwordx4 s[0:3], s[4:5], 0x8
	s_waitcnt lgkmcnt(0)
	v_mov_b32_e32 v4, s1
	v_mov_b32_e32 v6, s3
	s_waitcnt vmcnt(0)
	v_ashrrev_i32_e32 v3, 31, v2
	v_lshlrev_b64 v[2:3], 4, v[2:3]
	v_add_co_u32_e32 v2, vcc, s0, v2
	v_addc_co_u32_e32 v3, vcc, v4, v3, vcc
	global_load_dwordx4 v[2:5], v[2:3], off
	v_add_co_u32_e32 v0, vcc, s2, v0
	v_addc_co_u32_e32 v1, vcc, v6, v1, vcc
	s_waitcnt vmcnt(0)
	global_store_dwordx4 v[0:1], v[2:5], off
.LBB25_2:
	s_endpgm
	.section	.rodata,"a",@progbits
	.p2align	6, 0x0
	.amdhsa_kernel _ZN9rocsparseL25kernel_get_permuted_arrayILj256E21rocsparse_complex_numIdEiEEvT1_PKT0_PS4_PKS3_
		.amdhsa_group_segment_fixed_size 0
		.amdhsa_private_segment_fixed_size 0
		.amdhsa_kernarg_size 288
		.amdhsa_user_sgpr_count 6
		.amdhsa_user_sgpr_private_segment_buffer 1
		.amdhsa_user_sgpr_dispatch_ptr 0
		.amdhsa_user_sgpr_queue_ptr 0
		.amdhsa_user_sgpr_kernarg_segment_ptr 1
		.amdhsa_user_sgpr_dispatch_id 0
		.amdhsa_user_sgpr_flat_scratch_init 0
		.amdhsa_user_sgpr_kernarg_preload_length 0
		.amdhsa_user_sgpr_kernarg_preload_offset 0
		.amdhsa_user_sgpr_private_segment_size 0
		.amdhsa_uses_dynamic_stack 0
		.amdhsa_system_sgpr_private_segment_wavefront_offset 0
		.amdhsa_system_sgpr_workgroup_id_x 1
		.amdhsa_system_sgpr_workgroup_id_y 0
		.amdhsa_system_sgpr_workgroup_id_z 0
		.amdhsa_system_sgpr_workgroup_info 0
		.amdhsa_system_vgpr_workitem_id 0
		.amdhsa_next_free_vgpr 7
		.amdhsa_next_free_sgpr 7
		.amdhsa_accum_offset 8
		.amdhsa_reserve_vcc 1
		.amdhsa_reserve_flat_scratch 0
		.amdhsa_float_round_mode_32 0
		.amdhsa_float_round_mode_16_64 0
		.amdhsa_float_denorm_mode_32 3
		.amdhsa_float_denorm_mode_16_64 3
		.amdhsa_dx10_clamp 1
		.amdhsa_ieee_mode 1
		.amdhsa_fp16_overflow 0
		.amdhsa_tg_split 0
		.amdhsa_exception_fp_ieee_invalid_op 0
		.amdhsa_exception_fp_denorm_src 0
		.amdhsa_exception_fp_ieee_div_zero 0
		.amdhsa_exception_fp_ieee_overflow 0
		.amdhsa_exception_fp_ieee_underflow 0
		.amdhsa_exception_fp_ieee_inexact 0
		.amdhsa_exception_int_div_zero 0
	.end_amdhsa_kernel
	.section	.text._ZN9rocsparseL25kernel_get_permuted_arrayILj256E21rocsparse_complex_numIdEiEEvT1_PKT0_PS4_PKS3_,"axG",@progbits,_ZN9rocsparseL25kernel_get_permuted_arrayILj256E21rocsparse_complex_numIdEiEEvT1_PKT0_PS4_PKS3_,comdat
.Lfunc_end25:
	.size	_ZN9rocsparseL25kernel_get_permuted_arrayILj256E21rocsparse_complex_numIdEiEEvT1_PKT0_PS4_PKS3_, .Lfunc_end25-_ZN9rocsparseL25kernel_get_permuted_arrayILj256E21rocsparse_complex_numIdEiEEvT1_PKT0_PS4_PKS3_
                                        ; -- End function
	.section	.AMDGPU.csdata,"",@progbits
; Kernel info:
; codeLenInByte = 176
; NumSgprs: 11
; NumVgprs: 7
; NumAgprs: 0
; TotalNumVgprs: 7
; ScratchSize: 0
; MemoryBound: 0
; FloatMode: 240
; IeeeMode: 1
; LDSByteSize: 0 bytes/workgroup (compile time only)
; SGPRBlocks: 1
; VGPRBlocks: 0
; NumSGPRsForWavesPerEU: 11
; NumVGPRsForWavesPerEU: 7
; AccumOffset: 8
; Occupancy: 8
; WaveLimiterHint : 0
; COMPUTE_PGM_RSRC2:SCRATCH_EN: 0
; COMPUTE_PGM_RSRC2:USER_SGPR: 6
; COMPUTE_PGM_RSRC2:TRAP_HANDLER: 0
; COMPUTE_PGM_RSRC2:TGID_X_EN: 1
; COMPUTE_PGM_RSRC2:TGID_Y_EN: 0
; COMPUTE_PGM_RSRC2:TGID_Z_EN: 0
; COMPUTE_PGM_RSRC2:TIDIG_COMP_CNT: 0
; COMPUTE_PGM_RSRC3_GFX90A:ACCUM_OFFSET: 1
; COMPUTE_PGM_RSRC3_GFX90A:TG_SPLIT: 0
	.section	.text._ZN9rocsparseL25kernel_set_permuted_arrayILj256E21rocsparse_complex_numIdEiEEvT1_PT0_PKS4_PKS3_,"axG",@progbits,_ZN9rocsparseL25kernel_set_permuted_arrayILj256E21rocsparse_complex_numIdEiEEvT1_PT0_PKS4_PKS3_,comdat
	.globl	_ZN9rocsparseL25kernel_set_permuted_arrayILj256E21rocsparse_complex_numIdEiEEvT1_PT0_PKS4_PKS3_ ; -- Begin function _ZN9rocsparseL25kernel_set_permuted_arrayILj256E21rocsparse_complex_numIdEiEEvT1_PT0_PKS4_PKS3_
	.p2align	8
	.type	_ZN9rocsparseL25kernel_set_permuted_arrayILj256E21rocsparse_complex_numIdEiEEvT1_PT0_PKS4_PKS3_,@function
_ZN9rocsparseL25kernel_set_permuted_arrayILj256E21rocsparse_complex_numIdEiEEvT1_PT0_PKS4_PKS3_: ; @_ZN9rocsparseL25kernel_set_permuted_arrayILj256E21rocsparse_complex_numIdEiEEvT1_PT0_PKS4_PKS3_
; %bb.0:
	s_load_dword s0, s[4:5], 0x2c
	s_load_dword s1, s[4:5], 0x0
	s_waitcnt lgkmcnt(0)
	s_and_b32 s0, s0, 0xffff
	s_mul_i32 s6, s6, s0
	v_add_u32_e32 v0, s6, v0
	v_cmp_gt_i32_e32 vcc, s1, v0
	s_and_saveexec_b64 s[0:1], vcc
	s_cbranch_execz .LBB26_2
; %bb.1:
	s_load_dwordx2 s[6:7], s[4:5], 0x18
	s_load_dwordx4 s[0:3], s[4:5], 0x8
	v_ashrrev_i32_e32 v1, 31, v0
	v_lshlrev_b64 v[2:3], 2, v[0:1]
	v_lshlrev_b64 v[0:1], 4, v[0:1]
	s_waitcnt lgkmcnt(0)
	v_mov_b32_e32 v4, s7
	v_add_co_u32_e32 v2, vcc, s6, v2
	v_addc_co_u32_e32 v3, vcc, v4, v3, vcc
	global_load_dword v4, v[2:3], off
	v_mov_b32_e32 v2, s3
	v_add_co_u32_e32 v0, vcc, s2, v0
	v_addc_co_u32_e32 v1, vcc, v2, v1, vcc
	global_load_dwordx4 v[0:3], v[0:1], off
	v_mov_b32_e32 v6, s1
	s_waitcnt vmcnt(1)
	v_ashrrev_i32_e32 v5, 31, v4
	v_lshlrev_b64 v[4:5], 4, v[4:5]
	v_add_co_u32_e32 v4, vcc, s0, v4
	v_addc_co_u32_e32 v5, vcc, v6, v5, vcc
	s_waitcnt vmcnt(0)
	global_store_dwordx4 v[4:5], v[0:3], off
.LBB26_2:
	s_endpgm
	.section	.rodata,"a",@progbits
	.p2align	6, 0x0
	.amdhsa_kernel _ZN9rocsparseL25kernel_set_permuted_arrayILj256E21rocsparse_complex_numIdEiEEvT1_PT0_PKS4_PKS3_
		.amdhsa_group_segment_fixed_size 0
		.amdhsa_private_segment_fixed_size 0
		.amdhsa_kernarg_size 288
		.amdhsa_user_sgpr_count 6
		.amdhsa_user_sgpr_private_segment_buffer 1
		.amdhsa_user_sgpr_dispatch_ptr 0
		.amdhsa_user_sgpr_queue_ptr 0
		.amdhsa_user_sgpr_kernarg_segment_ptr 1
		.amdhsa_user_sgpr_dispatch_id 0
		.amdhsa_user_sgpr_flat_scratch_init 0
		.amdhsa_user_sgpr_kernarg_preload_length 0
		.amdhsa_user_sgpr_kernarg_preload_offset 0
		.amdhsa_user_sgpr_private_segment_size 0
		.amdhsa_uses_dynamic_stack 0
		.amdhsa_system_sgpr_private_segment_wavefront_offset 0
		.amdhsa_system_sgpr_workgroup_id_x 1
		.amdhsa_system_sgpr_workgroup_id_y 0
		.amdhsa_system_sgpr_workgroup_id_z 0
		.amdhsa_system_sgpr_workgroup_info 0
		.amdhsa_system_vgpr_workitem_id 0
		.amdhsa_next_free_vgpr 7
		.amdhsa_next_free_sgpr 8
		.amdhsa_accum_offset 8
		.amdhsa_reserve_vcc 1
		.amdhsa_reserve_flat_scratch 0
		.amdhsa_float_round_mode_32 0
		.amdhsa_float_round_mode_16_64 0
		.amdhsa_float_denorm_mode_32 3
		.amdhsa_float_denorm_mode_16_64 3
		.amdhsa_dx10_clamp 1
		.amdhsa_ieee_mode 1
		.amdhsa_fp16_overflow 0
		.amdhsa_tg_split 0
		.amdhsa_exception_fp_ieee_invalid_op 0
		.amdhsa_exception_fp_denorm_src 0
		.amdhsa_exception_fp_ieee_div_zero 0
		.amdhsa_exception_fp_ieee_overflow 0
		.amdhsa_exception_fp_ieee_underflow 0
		.amdhsa_exception_fp_ieee_inexact 0
		.amdhsa_exception_int_div_zero 0
	.end_amdhsa_kernel
	.section	.text._ZN9rocsparseL25kernel_set_permuted_arrayILj256E21rocsparse_complex_numIdEiEEvT1_PT0_PKS4_PKS3_,"axG",@progbits,_ZN9rocsparseL25kernel_set_permuted_arrayILj256E21rocsparse_complex_numIdEiEEvT1_PT0_PKS4_PKS3_,comdat
.Lfunc_end26:
	.size	_ZN9rocsparseL25kernel_set_permuted_arrayILj256E21rocsparse_complex_numIdEiEEvT1_PT0_PKS4_PKS3_, .Lfunc_end26-_ZN9rocsparseL25kernel_set_permuted_arrayILj256E21rocsparse_complex_numIdEiEEvT1_PT0_PKS4_PKS3_
                                        ; -- End function
	.section	.AMDGPU.csdata,"",@progbits
; Kernel info:
; codeLenInByte = 172
; NumSgprs: 12
; NumVgprs: 7
; NumAgprs: 0
; TotalNumVgprs: 7
; ScratchSize: 0
; MemoryBound: 0
; FloatMode: 240
; IeeeMode: 1
; LDSByteSize: 0 bytes/workgroup (compile time only)
; SGPRBlocks: 1
; VGPRBlocks: 0
; NumSGPRsForWavesPerEU: 12
; NumVGPRsForWavesPerEU: 7
; AccumOffset: 8
; Occupancy: 8
; WaveLimiterHint : 1
; COMPUTE_PGM_RSRC2:SCRATCH_EN: 0
; COMPUTE_PGM_RSRC2:USER_SGPR: 6
; COMPUTE_PGM_RSRC2:TRAP_HANDLER: 0
; COMPUTE_PGM_RSRC2:TGID_X_EN: 1
; COMPUTE_PGM_RSRC2:TGID_Y_EN: 0
; COMPUTE_PGM_RSRC2:TGID_Z_EN: 0
; COMPUTE_PGM_RSRC2:TIDIG_COMP_CNT: 0
; COMPUTE_PGM_RSRC3_GFX90A:ACCUM_OFFSET: 1
; COMPUTE_PGM_RSRC3_GFX90A:TG_SPLIT: 0
	.section	.text._ZN9rocsparseL25kernel_set_identity_arrayILj512EfiEEvT1_PT0_,"axG",@progbits,_ZN9rocsparseL25kernel_set_identity_arrayILj512EfiEEvT1_PT0_,comdat
	.globl	_ZN9rocsparseL25kernel_set_identity_arrayILj512EfiEEvT1_PT0_ ; -- Begin function _ZN9rocsparseL25kernel_set_identity_arrayILj512EfiEEvT1_PT0_
	.p2align	8
	.type	_ZN9rocsparseL25kernel_set_identity_arrayILj512EfiEEvT1_PT0_,@function
_ZN9rocsparseL25kernel_set_identity_arrayILj512EfiEEvT1_PT0_: ; @_ZN9rocsparseL25kernel_set_identity_arrayILj512EfiEEvT1_PT0_
; %bb.0:
	s_load_dword s0, s[4:5], 0x1c
	s_load_dword s1, s[4:5], 0x0
	s_waitcnt lgkmcnt(0)
	s_and_b32 s0, s0, 0xffff
	s_mul_i32 s6, s6, s0
	v_add_u32_e32 v0, s6, v0
	v_cmp_gt_i32_e32 vcc, s1, v0
	s_and_saveexec_b64 s[0:1], vcc
	s_cbranch_execz .LBB27_2
; %bb.1:
	s_load_dwordx2 s[0:1], s[4:5], 0x8
	v_ashrrev_i32_e32 v1, 31, v0
	v_lshlrev_b64 v[0:1], 2, v[0:1]
	s_waitcnt lgkmcnt(0)
	v_mov_b32_e32 v2, s1
	v_add_co_u32_e32 v0, vcc, s0, v0
	v_addc_co_u32_e32 v1, vcc, v2, v1, vcc
	v_mov_b32_e32 v2, 1.0
	global_store_dword v[0:1], v2, off
.LBB27_2:
	s_endpgm
	.section	.rodata,"a",@progbits
	.p2align	6, 0x0
	.amdhsa_kernel _ZN9rocsparseL25kernel_set_identity_arrayILj512EfiEEvT1_PT0_
		.amdhsa_group_segment_fixed_size 0
		.amdhsa_private_segment_fixed_size 0
		.amdhsa_kernarg_size 272
		.amdhsa_user_sgpr_count 6
		.amdhsa_user_sgpr_private_segment_buffer 1
		.amdhsa_user_sgpr_dispatch_ptr 0
		.amdhsa_user_sgpr_queue_ptr 0
		.amdhsa_user_sgpr_kernarg_segment_ptr 1
		.amdhsa_user_sgpr_dispatch_id 0
		.amdhsa_user_sgpr_flat_scratch_init 0
		.amdhsa_user_sgpr_kernarg_preload_length 0
		.amdhsa_user_sgpr_kernarg_preload_offset 0
		.amdhsa_user_sgpr_private_segment_size 0
		.amdhsa_uses_dynamic_stack 0
		.amdhsa_system_sgpr_private_segment_wavefront_offset 0
		.amdhsa_system_sgpr_workgroup_id_x 1
		.amdhsa_system_sgpr_workgroup_id_y 0
		.amdhsa_system_sgpr_workgroup_id_z 0
		.amdhsa_system_sgpr_workgroup_info 0
		.amdhsa_system_vgpr_workitem_id 0
		.amdhsa_next_free_vgpr 3
		.amdhsa_next_free_sgpr 7
		.amdhsa_accum_offset 4
		.amdhsa_reserve_vcc 1
		.amdhsa_reserve_flat_scratch 0
		.amdhsa_float_round_mode_32 0
		.amdhsa_float_round_mode_16_64 0
		.amdhsa_float_denorm_mode_32 3
		.amdhsa_float_denorm_mode_16_64 3
		.amdhsa_dx10_clamp 1
		.amdhsa_ieee_mode 1
		.amdhsa_fp16_overflow 0
		.amdhsa_tg_split 0
		.amdhsa_exception_fp_ieee_invalid_op 0
		.amdhsa_exception_fp_denorm_src 0
		.amdhsa_exception_fp_ieee_div_zero 0
		.amdhsa_exception_fp_ieee_overflow 0
		.amdhsa_exception_fp_ieee_underflow 0
		.amdhsa_exception_fp_ieee_inexact 0
		.amdhsa_exception_int_div_zero 0
	.end_amdhsa_kernel
	.section	.text._ZN9rocsparseL25kernel_set_identity_arrayILj512EfiEEvT1_PT0_,"axG",@progbits,_ZN9rocsparseL25kernel_set_identity_arrayILj512EfiEEvT1_PT0_,comdat
.Lfunc_end27:
	.size	_ZN9rocsparseL25kernel_set_identity_arrayILj512EfiEEvT1_PT0_, .Lfunc_end27-_ZN9rocsparseL25kernel_set_identity_arrayILj512EfiEEvT1_PT0_
                                        ; -- End function
	.section	.AMDGPU.csdata,"",@progbits
; Kernel info:
; codeLenInByte = 100
; NumSgprs: 11
; NumVgprs: 3
; NumAgprs: 0
; TotalNumVgprs: 3
; ScratchSize: 0
; MemoryBound: 0
; FloatMode: 240
; IeeeMode: 1
; LDSByteSize: 0 bytes/workgroup (compile time only)
; SGPRBlocks: 1
; VGPRBlocks: 0
; NumSGPRsForWavesPerEU: 11
; NumVGPRsForWavesPerEU: 3
; AccumOffset: 4
; Occupancy: 8
; WaveLimiterHint : 0
; COMPUTE_PGM_RSRC2:SCRATCH_EN: 0
; COMPUTE_PGM_RSRC2:USER_SGPR: 6
; COMPUTE_PGM_RSRC2:TRAP_HANDLER: 0
; COMPUTE_PGM_RSRC2:TGID_X_EN: 1
; COMPUTE_PGM_RSRC2:TGID_Y_EN: 0
; COMPUTE_PGM_RSRC2:TGID_Z_EN: 0
; COMPUTE_PGM_RSRC2:TIDIG_COMP_CNT: 0
; COMPUTE_PGM_RSRC3_GFX90A:ACCUM_OFFSET: 0
; COMPUTE_PGM_RSRC3_GFX90A:TG_SPLIT: 0
	.section	.text._ZN9rocsparseL25kernel_get_permuted_arrayILj512EfiEEvT1_PKT0_PS2_PKS1_,"axG",@progbits,_ZN9rocsparseL25kernel_get_permuted_arrayILj512EfiEEvT1_PKT0_PS2_PKS1_,comdat
	.globl	_ZN9rocsparseL25kernel_get_permuted_arrayILj512EfiEEvT1_PKT0_PS2_PKS1_ ; -- Begin function _ZN9rocsparseL25kernel_get_permuted_arrayILj512EfiEEvT1_PKT0_PS2_PKS1_
	.p2align	8
	.type	_ZN9rocsparseL25kernel_get_permuted_arrayILj512EfiEEvT1_PKT0_PS2_PKS1_,@function
_ZN9rocsparseL25kernel_get_permuted_arrayILj512EfiEEvT1_PKT0_PS2_PKS1_: ; @_ZN9rocsparseL25kernel_get_permuted_arrayILj512EfiEEvT1_PKT0_PS2_PKS1_
; %bb.0:
	s_load_dword s0, s[4:5], 0x2c
	s_load_dword s1, s[4:5], 0x0
	s_waitcnt lgkmcnt(0)
	s_and_b32 s0, s0, 0xffff
	s_mul_i32 s6, s6, s0
	v_add_u32_e32 v0, s6, v0
	v_cmp_gt_i32_e32 vcc, s1, v0
	s_and_saveexec_b64 s[0:1], vcc
	s_cbranch_execz .LBB28_2
; %bb.1:
	s_load_dwordx2 s[0:1], s[4:5], 0x18
	v_ashrrev_i32_e32 v1, 31, v0
	v_lshlrev_b64 v[0:1], 2, v[0:1]
	s_waitcnt lgkmcnt(0)
	v_mov_b32_e32 v3, s1
	v_add_co_u32_e32 v2, vcc, s0, v0
	v_addc_co_u32_e32 v3, vcc, v3, v1, vcc
	global_load_dword v2, v[2:3], off
	s_load_dwordx4 s[0:3], s[4:5], 0x8
	s_waitcnt lgkmcnt(0)
	v_mov_b32_e32 v4, s1
	s_waitcnt vmcnt(0)
	v_ashrrev_i32_e32 v3, 31, v2
	v_lshlrev_b64 v[2:3], 2, v[2:3]
	v_add_co_u32_e32 v2, vcc, s0, v2
	v_addc_co_u32_e32 v3, vcc, v4, v3, vcc
	global_load_dword v2, v[2:3], off
	v_mov_b32_e32 v3, s3
	v_add_co_u32_e32 v0, vcc, s2, v0
	v_addc_co_u32_e32 v1, vcc, v3, v1, vcc
	s_waitcnt vmcnt(0)
	global_store_dword v[0:1], v2, off
.LBB28_2:
	s_endpgm
	.section	.rodata,"a",@progbits
	.p2align	6, 0x0
	.amdhsa_kernel _ZN9rocsparseL25kernel_get_permuted_arrayILj512EfiEEvT1_PKT0_PS2_PKS1_
		.amdhsa_group_segment_fixed_size 0
		.amdhsa_private_segment_fixed_size 0
		.amdhsa_kernarg_size 288
		.amdhsa_user_sgpr_count 6
		.amdhsa_user_sgpr_private_segment_buffer 1
		.amdhsa_user_sgpr_dispatch_ptr 0
		.amdhsa_user_sgpr_queue_ptr 0
		.amdhsa_user_sgpr_kernarg_segment_ptr 1
		.amdhsa_user_sgpr_dispatch_id 0
		.amdhsa_user_sgpr_flat_scratch_init 0
		.amdhsa_user_sgpr_kernarg_preload_length 0
		.amdhsa_user_sgpr_kernarg_preload_offset 0
		.amdhsa_user_sgpr_private_segment_size 0
		.amdhsa_uses_dynamic_stack 0
		.amdhsa_system_sgpr_private_segment_wavefront_offset 0
		.amdhsa_system_sgpr_workgroup_id_x 1
		.amdhsa_system_sgpr_workgroup_id_y 0
		.amdhsa_system_sgpr_workgroup_id_z 0
		.amdhsa_system_sgpr_workgroup_info 0
		.amdhsa_system_vgpr_workitem_id 0
		.amdhsa_next_free_vgpr 5
		.amdhsa_next_free_sgpr 7
		.amdhsa_accum_offset 8
		.amdhsa_reserve_vcc 1
		.amdhsa_reserve_flat_scratch 0
		.amdhsa_float_round_mode_32 0
		.amdhsa_float_round_mode_16_64 0
		.amdhsa_float_denorm_mode_32 3
		.amdhsa_float_denorm_mode_16_64 3
		.amdhsa_dx10_clamp 1
		.amdhsa_ieee_mode 1
		.amdhsa_fp16_overflow 0
		.amdhsa_tg_split 0
		.amdhsa_exception_fp_ieee_invalid_op 0
		.amdhsa_exception_fp_denorm_src 0
		.amdhsa_exception_fp_ieee_div_zero 0
		.amdhsa_exception_fp_ieee_overflow 0
		.amdhsa_exception_fp_ieee_underflow 0
		.amdhsa_exception_fp_ieee_inexact 0
		.amdhsa_exception_int_div_zero 0
	.end_amdhsa_kernel
	.section	.text._ZN9rocsparseL25kernel_get_permuted_arrayILj512EfiEEvT1_PKT0_PS2_PKS1_,"axG",@progbits,_ZN9rocsparseL25kernel_get_permuted_arrayILj512EfiEEvT1_PKT0_PS2_PKS1_,comdat
.Lfunc_end28:
	.size	_ZN9rocsparseL25kernel_get_permuted_arrayILj512EfiEEvT1_PKT0_PS2_PKS1_, .Lfunc_end28-_ZN9rocsparseL25kernel_get_permuted_arrayILj512EfiEEvT1_PKT0_PS2_PKS1_
                                        ; -- End function
	.section	.AMDGPU.csdata,"",@progbits
; Kernel info:
; codeLenInByte = 168
; NumSgprs: 11
; NumVgprs: 5
; NumAgprs: 0
; TotalNumVgprs: 5
; ScratchSize: 0
; MemoryBound: 0
; FloatMode: 240
; IeeeMode: 1
; LDSByteSize: 0 bytes/workgroup (compile time only)
; SGPRBlocks: 1
; VGPRBlocks: 0
; NumSGPRsForWavesPerEU: 11
; NumVGPRsForWavesPerEU: 5
; AccumOffset: 8
; Occupancy: 8
; WaveLimiterHint : 1
; COMPUTE_PGM_RSRC2:SCRATCH_EN: 0
; COMPUTE_PGM_RSRC2:USER_SGPR: 6
; COMPUTE_PGM_RSRC2:TRAP_HANDLER: 0
; COMPUTE_PGM_RSRC2:TGID_X_EN: 1
; COMPUTE_PGM_RSRC2:TGID_Y_EN: 0
; COMPUTE_PGM_RSRC2:TGID_Z_EN: 0
; COMPUTE_PGM_RSRC2:TIDIG_COMP_CNT: 0
; COMPUTE_PGM_RSRC3_GFX90A:ACCUM_OFFSET: 1
; COMPUTE_PGM_RSRC3_GFX90A:TG_SPLIT: 0
	.section	.text._ZN9rocsparseL25kernel_set_permuted_arrayILj512EfiEEvT1_PT0_PKS2_PKS1_,"axG",@progbits,_ZN9rocsparseL25kernel_set_permuted_arrayILj512EfiEEvT1_PT0_PKS2_PKS1_,comdat
	.globl	_ZN9rocsparseL25kernel_set_permuted_arrayILj512EfiEEvT1_PT0_PKS2_PKS1_ ; -- Begin function _ZN9rocsparseL25kernel_set_permuted_arrayILj512EfiEEvT1_PT0_PKS2_PKS1_
	.p2align	8
	.type	_ZN9rocsparseL25kernel_set_permuted_arrayILj512EfiEEvT1_PT0_PKS2_PKS1_,@function
_ZN9rocsparseL25kernel_set_permuted_arrayILj512EfiEEvT1_PT0_PKS2_PKS1_: ; @_ZN9rocsparseL25kernel_set_permuted_arrayILj512EfiEEvT1_PT0_PKS2_PKS1_
; %bb.0:
	s_load_dword s0, s[4:5], 0x2c
	s_load_dword s1, s[4:5], 0x0
	s_waitcnt lgkmcnt(0)
	s_and_b32 s0, s0, 0xffff
	s_mul_i32 s6, s6, s0
	v_add_u32_e32 v0, s6, v0
	v_cmp_gt_i32_e32 vcc, s1, v0
	s_and_saveexec_b64 s[0:1], vcc
	s_cbranch_execz .LBB29_2
; %bb.1:
	s_load_dwordx2 s[6:7], s[4:5], 0x18
	s_load_dwordx4 s[0:3], s[4:5], 0x8
	v_ashrrev_i32_e32 v1, 31, v0
	v_lshlrev_b64 v[0:1], 2, v[0:1]
	s_waitcnt lgkmcnt(0)
	v_mov_b32_e32 v3, s7
	v_add_co_u32_e32 v2, vcc, s6, v0
	v_addc_co_u32_e32 v3, vcc, v3, v1, vcc
	global_load_dword v2, v[2:3], off
	v_mov_b32_e32 v3, s3
	v_add_co_u32_e32 v0, vcc, s2, v0
	v_addc_co_u32_e32 v1, vcc, v3, v1, vcc
	global_load_dword v4, v[0:1], off
	v_mov_b32_e32 v5, s1
	s_waitcnt vmcnt(1)
	v_ashrrev_i32_e32 v3, 31, v2
	v_lshlrev_b64 v[0:1], 2, v[2:3]
	v_add_co_u32_e32 v0, vcc, s0, v0
	v_addc_co_u32_e32 v1, vcc, v5, v1, vcc
	s_waitcnt vmcnt(0)
	global_store_dword v[0:1], v4, off
.LBB29_2:
	s_endpgm
	.section	.rodata,"a",@progbits
	.p2align	6, 0x0
	.amdhsa_kernel _ZN9rocsparseL25kernel_set_permuted_arrayILj512EfiEEvT1_PT0_PKS2_PKS1_
		.amdhsa_group_segment_fixed_size 0
		.amdhsa_private_segment_fixed_size 0
		.amdhsa_kernarg_size 288
		.amdhsa_user_sgpr_count 6
		.amdhsa_user_sgpr_private_segment_buffer 1
		.amdhsa_user_sgpr_dispatch_ptr 0
		.amdhsa_user_sgpr_queue_ptr 0
		.amdhsa_user_sgpr_kernarg_segment_ptr 1
		.amdhsa_user_sgpr_dispatch_id 0
		.amdhsa_user_sgpr_flat_scratch_init 0
		.amdhsa_user_sgpr_kernarg_preload_length 0
		.amdhsa_user_sgpr_kernarg_preload_offset 0
		.amdhsa_user_sgpr_private_segment_size 0
		.amdhsa_uses_dynamic_stack 0
		.amdhsa_system_sgpr_private_segment_wavefront_offset 0
		.amdhsa_system_sgpr_workgroup_id_x 1
		.amdhsa_system_sgpr_workgroup_id_y 0
		.amdhsa_system_sgpr_workgroup_id_z 0
		.amdhsa_system_sgpr_workgroup_info 0
		.amdhsa_system_vgpr_workitem_id 0
		.amdhsa_next_free_vgpr 6
		.amdhsa_next_free_sgpr 8
		.amdhsa_accum_offset 8
		.amdhsa_reserve_vcc 1
		.amdhsa_reserve_flat_scratch 0
		.amdhsa_float_round_mode_32 0
		.amdhsa_float_round_mode_16_64 0
		.amdhsa_float_denorm_mode_32 3
		.amdhsa_float_denorm_mode_16_64 3
		.amdhsa_dx10_clamp 1
		.amdhsa_ieee_mode 1
		.amdhsa_fp16_overflow 0
		.amdhsa_tg_split 0
		.amdhsa_exception_fp_ieee_invalid_op 0
		.amdhsa_exception_fp_denorm_src 0
		.amdhsa_exception_fp_ieee_div_zero 0
		.amdhsa_exception_fp_ieee_overflow 0
		.amdhsa_exception_fp_ieee_underflow 0
		.amdhsa_exception_fp_ieee_inexact 0
		.amdhsa_exception_int_div_zero 0
	.end_amdhsa_kernel
	.section	.text._ZN9rocsparseL25kernel_set_permuted_arrayILj512EfiEEvT1_PT0_PKS2_PKS1_,"axG",@progbits,_ZN9rocsparseL25kernel_set_permuted_arrayILj512EfiEEvT1_PT0_PKS2_PKS1_,comdat
.Lfunc_end29:
	.size	_ZN9rocsparseL25kernel_set_permuted_arrayILj512EfiEEvT1_PT0_PKS2_PKS1_, .Lfunc_end29-_ZN9rocsparseL25kernel_set_permuted_arrayILj512EfiEEvT1_PT0_PKS2_PKS1_
                                        ; -- End function
	.section	.AMDGPU.csdata,"",@progbits
; Kernel info:
; codeLenInByte = 164
; NumSgprs: 12
; NumVgprs: 6
; NumAgprs: 0
; TotalNumVgprs: 6
; ScratchSize: 0
; MemoryBound: 0
; FloatMode: 240
; IeeeMode: 1
; LDSByteSize: 0 bytes/workgroup (compile time only)
; SGPRBlocks: 1
; VGPRBlocks: 0
; NumSGPRsForWavesPerEU: 12
; NumVGPRsForWavesPerEU: 6
; AccumOffset: 8
; Occupancy: 8
; WaveLimiterHint : 1
; COMPUTE_PGM_RSRC2:SCRATCH_EN: 0
; COMPUTE_PGM_RSRC2:USER_SGPR: 6
; COMPUTE_PGM_RSRC2:TRAP_HANDLER: 0
; COMPUTE_PGM_RSRC2:TGID_X_EN: 1
; COMPUTE_PGM_RSRC2:TGID_Y_EN: 0
; COMPUTE_PGM_RSRC2:TGID_Z_EN: 0
; COMPUTE_PGM_RSRC2:TIDIG_COMP_CNT: 0
; COMPUTE_PGM_RSRC3_GFX90A:ACCUM_OFFSET: 1
; COMPUTE_PGM_RSRC3_GFX90A:TG_SPLIT: 0
	.section	.text._ZN9rocsparseL25kernel_set_identity_arrayILj512EdiEEvT1_PT0_,"axG",@progbits,_ZN9rocsparseL25kernel_set_identity_arrayILj512EdiEEvT1_PT0_,comdat
	.globl	_ZN9rocsparseL25kernel_set_identity_arrayILj512EdiEEvT1_PT0_ ; -- Begin function _ZN9rocsparseL25kernel_set_identity_arrayILj512EdiEEvT1_PT0_
	.p2align	8
	.type	_ZN9rocsparseL25kernel_set_identity_arrayILj512EdiEEvT1_PT0_,@function
_ZN9rocsparseL25kernel_set_identity_arrayILj512EdiEEvT1_PT0_: ; @_ZN9rocsparseL25kernel_set_identity_arrayILj512EdiEEvT1_PT0_
; %bb.0:
	s_load_dword s0, s[4:5], 0x1c
	s_load_dword s1, s[4:5], 0x0
	s_waitcnt lgkmcnt(0)
	s_and_b32 s0, s0, 0xffff
	s_mul_i32 s6, s6, s0
	v_add_u32_e32 v0, s6, v0
	v_cmp_gt_i32_e32 vcc, s1, v0
	s_and_saveexec_b64 s[0:1], vcc
	s_cbranch_execz .LBB30_2
; %bb.1:
	s_load_dwordx2 s[0:1], s[4:5], 0x8
	v_ashrrev_i32_e32 v1, 31, v0
	v_lshlrev_b64 v[0:1], 3, v[0:1]
	v_mov_b32_e32 v3, 0x3ff00000
	s_waitcnt lgkmcnt(0)
	v_mov_b32_e32 v2, s1
	v_add_co_u32_e32 v0, vcc, s0, v0
	v_addc_co_u32_e32 v1, vcc, v2, v1, vcc
	v_mov_b32_e32 v2, 0
	global_store_dwordx2 v[0:1], v[2:3], off
.LBB30_2:
	s_endpgm
	.section	.rodata,"a",@progbits
	.p2align	6, 0x0
	.amdhsa_kernel _ZN9rocsparseL25kernel_set_identity_arrayILj512EdiEEvT1_PT0_
		.amdhsa_group_segment_fixed_size 0
		.amdhsa_private_segment_fixed_size 0
		.amdhsa_kernarg_size 272
		.amdhsa_user_sgpr_count 6
		.amdhsa_user_sgpr_private_segment_buffer 1
		.amdhsa_user_sgpr_dispatch_ptr 0
		.amdhsa_user_sgpr_queue_ptr 0
		.amdhsa_user_sgpr_kernarg_segment_ptr 1
		.amdhsa_user_sgpr_dispatch_id 0
		.amdhsa_user_sgpr_flat_scratch_init 0
		.amdhsa_user_sgpr_kernarg_preload_length 0
		.amdhsa_user_sgpr_kernarg_preload_offset 0
		.amdhsa_user_sgpr_private_segment_size 0
		.amdhsa_uses_dynamic_stack 0
		.amdhsa_system_sgpr_private_segment_wavefront_offset 0
		.amdhsa_system_sgpr_workgroup_id_x 1
		.amdhsa_system_sgpr_workgroup_id_y 0
		.amdhsa_system_sgpr_workgroup_id_z 0
		.amdhsa_system_sgpr_workgroup_info 0
		.amdhsa_system_vgpr_workitem_id 0
		.amdhsa_next_free_vgpr 4
		.amdhsa_next_free_sgpr 7
		.amdhsa_accum_offset 4
		.amdhsa_reserve_vcc 1
		.amdhsa_reserve_flat_scratch 0
		.amdhsa_float_round_mode_32 0
		.amdhsa_float_round_mode_16_64 0
		.amdhsa_float_denorm_mode_32 3
		.amdhsa_float_denorm_mode_16_64 3
		.amdhsa_dx10_clamp 1
		.amdhsa_ieee_mode 1
		.amdhsa_fp16_overflow 0
		.amdhsa_tg_split 0
		.amdhsa_exception_fp_ieee_invalid_op 0
		.amdhsa_exception_fp_denorm_src 0
		.amdhsa_exception_fp_ieee_div_zero 0
		.amdhsa_exception_fp_ieee_overflow 0
		.amdhsa_exception_fp_ieee_underflow 0
		.amdhsa_exception_fp_ieee_inexact 0
		.amdhsa_exception_int_div_zero 0
	.end_amdhsa_kernel
	.section	.text._ZN9rocsparseL25kernel_set_identity_arrayILj512EdiEEvT1_PT0_,"axG",@progbits,_ZN9rocsparseL25kernel_set_identity_arrayILj512EdiEEvT1_PT0_,comdat
.Lfunc_end30:
	.size	_ZN9rocsparseL25kernel_set_identity_arrayILj512EdiEEvT1_PT0_, .Lfunc_end30-_ZN9rocsparseL25kernel_set_identity_arrayILj512EdiEEvT1_PT0_
                                        ; -- End function
	.section	.AMDGPU.csdata,"",@progbits
; Kernel info:
; codeLenInByte = 108
; NumSgprs: 11
; NumVgprs: 4
; NumAgprs: 0
; TotalNumVgprs: 4
; ScratchSize: 0
; MemoryBound: 0
; FloatMode: 240
; IeeeMode: 1
; LDSByteSize: 0 bytes/workgroup (compile time only)
; SGPRBlocks: 1
; VGPRBlocks: 0
; NumSGPRsForWavesPerEU: 11
; NumVGPRsForWavesPerEU: 4
; AccumOffset: 4
; Occupancy: 8
; WaveLimiterHint : 0
; COMPUTE_PGM_RSRC2:SCRATCH_EN: 0
; COMPUTE_PGM_RSRC2:USER_SGPR: 6
; COMPUTE_PGM_RSRC2:TRAP_HANDLER: 0
; COMPUTE_PGM_RSRC2:TGID_X_EN: 1
; COMPUTE_PGM_RSRC2:TGID_Y_EN: 0
; COMPUTE_PGM_RSRC2:TGID_Z_EN: 0
; COMPUTE_PGM_RSRC2:TIDIG_COMP_CNT: 0
; COMPUTE_PGM_RSRC3_GFX90A:ACCUM_OFFSET: 0
; COMPUTE_PGM_RSRC3_GFX90A:TG_SPLIT: 0
	.section	.text._ZN9rocsparseL25kernel_get_permuted_arrayILj512EdiEEvT1_PKT0_PS2_PKS1_,"axG",@progbits,_ZN9rocsparseL25kernel_get_permuted_arrayILj512EdiEEvT1_PKT0_PS2_PKS1_,comdat
	.globl	_ZN9rocsparseL25kernel_get_permuted_arrayILj512EdiEEvT1_PKT0_PS2_PKS1_ ; -- Begin function _ZN9rocsparseL25kernel_get_permuted_arrayILj512EdiEEvT1_PKT0_PS2_PKS1_
	.p2align	8
	.type	_ZN9rocsparseL25kernel_get_permuted_arrayILj512EdiEEvT1_PKT0_PS2_PKS1_,@function
_ZN9rocsparseL25kernel_get_permuted_arrayILj512EdiEEvT1_PKT0_PS2_PKS1_: ; @_ZN9rocsparseL25kernel_get_permuted_arrayILj512EdiEEvT1_PKT0_PS2_PKS1_
; %bb.0:
	s_load_dword s0, s[4:5], 0x2c
	s_load_dword s1, s[4:5], 0x0
	s_waitcnt lgkmcnt(0)
	s_and_b32 s0, s0, 0xffff
	s_mul_i32 s6, s6, s0
	v_add_u32_e32 v0, s6, v0
	v_cmp_gt_i32_e32 vcc, s1, v0
	s_and_saveexec_b64 s[0:1], vcc
	s_cbranch_execz .LBB31_2
; %bb.1:
	s_load_dwordx2 s[0:1], s[4:5], 0x18
	v_ashrrev_i32_e32 v1, 31, v0
	v_lshlrev_b64 v[2:3], 2, v[0:1]
	v_lshlrev_b64 v[0:1], 3, v[0:1]
	s_waitcnt lgkmcnt(0)
	v_mov_b32_e32 v4, s1
	v_add_co_u32_e32 v2, vcc, s0, v2
	v_addc_co_u32_e32 v3, vcc, v4, v3, vcc
	global_load_dword v2, v[2:3], off
	s_load_dwordx4 s[0:3], s[4:5], 0x8
	s_waitcnt lgkmcnt(0)
	v_mov_b32_e32 v4, s1
	s_waitcnt vmcnt(0)
	v_ashrrev_i32_e32 v3, 31, v2
	v_lshlrev_b64 v[2:3], 3, v[2:3]
	v_add_co_u32_e32 v2, vcc, s0, v2
	v_addc_co_u32_e32 v3, vcc, v4, v3, vcc
	global_load_dwordx2 v[2:3], v[2:3], off
	v_mov_b32_e32 v4, s3
	v_add_co_u32_e32 v0, vcc, s2, v0
	v_addc_co_u32_e32 v1, vcc, v4, v1, vcc
	s_waitcnt vmcnt(0)
	global_store_dwordx2 v[0:1], v[2:3], off
.LBB31_2:
	s_endpgm
	.section	.rodata,"a",@progbits
	.p2align	6, 0x0
	.amdhsa_kernel _ZN9rocsparseL25kernel_get_permuted_arrayILj512EdiEEvT1_PKT0_PS2_PKS1_
		.amdhsa_group_segment_fixed_size 0
		.amdhsa_private_segment_fixed_size 0
		.amdhsa_kernarg_size 288
		.amdhsa_user_sgpr_count 6
		.amdhsa_user_sgpr_private_segment_buffer 1
		.amdhsa_user_sgpr_dispatch_ptr 0
		.amdhsa_user_sgpr_queue_ptr 0
		.amdhsa_user_sgpr_kernarg_segment_ptr 1
		.amdhsa_user_sgpr_dispatch_id 0
		.amdhsa_user_sgpr_flat_scratch_init 0
		.amdhsa_user_sgpr_kernarg_preload_length 0
		.amdhsa_user_sgpr_kernarg_preload_offset 0
		.amdhsa_user_sgpr_private_segment_size 0
		.amdhsa_uses_dynamic_stack 0
		.amdhsa_system_sgpr_private_segment_wavefront_offset 0
		.amdhsa_system_sgpr_workgroup_id_x 1
		.amdhsa_system_sgpr_workgroup_id_y 0
		.amdhsa_system_sgpr_workgroup_id_z 0
		.amdhsa_system_sgpr_workgroup_info 0
		.amdhsa_system_vgpr_workitem_id 0
		.amdhsa_next_free_vgpr 5
		.amdhsa_next_free_sgpr 7
		.amdhsa_accum_offset 8
		.amdhsa_reserve_vcc 1
		.amdhsa_reserve_flat_scratch 0
		.amdhsa_float_round_mode_32 0
		.amdhsa_float_round_mode_16_64 0
		.amdhsa_float_denorm_mode_32 3
		.amdhsa_float_denorm_mode_16_64 3
		.amdhsa_dx10_clamp 1
		.amdhsa_ieee_mode 1
		.amdhsa_fp16_overflow 0
		.amdhsa_tg_split 0
		.amdhsa_exception_fp_ieee_invalid_op 0
		.amdhsa_exception_fp_denorm_src 0
		.amdhsa_exception_fp_ieee_div_zero 0
		.amdhsa_exception_fp_ieee_overflow 0
		.amdhsa_exception_fp_ieee_underflow 0
		.amdhsa_exception_fp_ieee_inexact 0
		.amdhsa_exception_int_div_zero 0
	.end_amdhsa_kernel
	.section	.text._ZN9rocsparseL25kernel_get_permuted_arrayILj512EdiEEvT1_PKT0_PS2_PKS1_,"axG",@progbits,_ZN9rocsparseL25kernel_get_permuted_arrayILj512EdiEEvT1_PKT0_PS2_PKS1_,comdat
.Lfunc_end31:
	.size	_ZN9rocsparseL25kernel_get_permuted_arrayILj512EdiEEvT1_PKT0_PS2_PKS1_, .Lfunc_end31-_ZN9rocsparseL25kernel_get_permuted_arrayILj512EdiEEvT1_PKT0_PS2_PKS1_
                                        ; -- End function
	.section	.AMDGPU.csdata,"",@progbits
; Kernel info:
; codeLenInByte = 176
; NumSgprs: 11
; NumVgprs: 5
; NumAgprs: 0
; TotalNumVgprs: 5
; ScratchSize: 0
; MemoryBound: 0
; FloatMode: 240
; IeeeMode: 1
; LDSByteSize: 0 bytes/workgroup (compile time only)
; SGPRBlocks: 1
; VGPRBlocks: 0
; NumSGPRsForWavesPerEU: 11
; NumVGPRsForWavesPerEU: 5
; AccumOffset: 8
; Occupancy: 8
; WaveLimiterHint : 1
; COMPUTE_PGM_RSRC2:SCRATCH_EN: 0
; COMPUTE_PGM_RSRC2:USER_SGPR: 6
; COMPUTE_PGM_RSRC2:TRAP_HANDLER: 0
; COMPUTE_PGM_RSRC2:TGID_X_EN: 1
; COMPUTE_PGM_RSRC2:TGID_Y_EN: 0
; COMPUTE_PGM_RSRC2:TGID_Z_EN: 0
; COMPUTE_PGM_RSRC2:TIDIG_COMP_CNT: 0
; COMPUTE_PGM_RSRC3_GFX90A:ACCUM_OFFSET: 1
; COMPUTE_PGM_RSRC3_GFX90A:TG_SPLIT: 0
	.section	.text._ZN9rocsparseL25kernel_set_permuted_arrayILj512EdiEEvT1_PT0_PKS2_PKS1_,"axG",@progbits,_ZN9rocsparseL25kernel_set_permuted_arrayILj512EdiEEvT1_PT0_PKS2_PKS1_,comdat
	.globl	_ZN9rocsparseL25kernel_set_permuted_arrayILj512EdiEEvT1_PT0_PKS2_PKS1_ ; -- Begin function _ZN9rocsparseL25kernel_set_permuted_arrayILj512EdiEEvT1_PT0_PKS2_PKS1_
	.p2align	8
	.type	_ZN9rocsparseL25kernel_set_permuted_arrayILj512EdiEEvT1_PT0_PKS2_PKS1_,@function
_ZN9rocsparseL25kernel_set_permuted_arrayILj512EdiEEvT1_PT0_PKS2_PKS1_: ; @_ZN9rocsparseL25kernel_set_permuted_arrayILj512EdiEEvT1_PT0_PKS2_PKS1_
; %bb.0:
	s_load_dword s0, s[4:5], 0x2c
	s_load_dword s1, s[4:5], 0x0
	s_waitcnt lgkmcnt(0)
	s_and_b32 s0, s0, 0xffff
	s_mul_i32 s6, s6, s0
	v_add_u32_e32 v0, s6, v0
	v_cmp_gt_i32_e32 vcc, s1, v0
	s_and_saveexec_b64 s[0:1], vcc
	s_cbranch_execz .LBB32_2
; %bb.1:
	s_load_dwordx2 s[6:7], s[4:5], 0x18
	s_load_dwordx4 s[0:3], s[4:5], 0x8
	v_ashrrev_i32_e32 v1, 31, v0
	v_lshlrev_b64 v[2:3], 3, v[0:1]
	v_lshlrev_b64 v[0:1], 2, v[0:1]
	s_waitcnt lgkmcnt(0)
	v_mov_b32_e32 v4, s7
	v_add_co_u32_e32 v0, vcc, s6, v0
	v_addc_co_u32_e32 v1, vcc, v4, v1, vcc
	global_load_dword v0, v[0:1], off
	v_mov_b32_e32 v1, s3
	v_add_co_u32_e32 v2, vcc, s2, v2
	v_addc_co_u32_e32 v3, vcc, v1, v3, vcc
	global_load_dwordx2 v[2:3], v[2:3], off
	v_mov_b32_e32 v4, s1
	s_waitcnt vmcnt(1)
	v_ashrrev_i32_e32 v1, 31, v0
	v_lshlrev_b64 v[0:1], 3, v[0:1]
	v_add_co_u32_e32 v0, vcc, s0, v0
	v_addc_co_u32_e32 v1, vcc, v4, v1, vcc
	s_waitcnt vmcnt(0)
	global_store_dwordx2 v[0:1], v[2:3], off
.LBB32_2:
	s_endpgm
	.section	.rodata,"a",@progbits
	.p2align	6, 0x0
	.amdhsa_kernel _ZN9rocsparseL25kernel_set_permuted_arrayILj512EdiEEvT1_PT0_PKS2_PKS1_
		.amdhsa_group_segment_fixed_size 0
		.amdhsa_private_segment_fixed_size 0
		.amdhsa_kernarg_size 288
		.amdhsa_user_sgpr_count 6
		.amdhsa_user_sgpr_private_segment_buffer 1
		.amdhsa_user_sgpr_dispatch_ptr 0
		.amdhsa_user_sgpr_queue_ptr 0
		.amdhsa_user_sgpr_kernarg_segment_ptr 1
		.amdhsa_user_sgpr_dispatch_id 0
		.amdhsa_user_sgpr_flat_scratch_init 0
		.amdhsa_user_sgpr_kernarg_preload_length 0
		.amdhsa_user_sgpr_kernarg_preload_offset 0
		.amdhsa_user_sgpr_private_segment_size 0
		.amdhsa_uses_dynamic_stack 0
		.amdhsa_system_sgpr_private_segment_wavefront_offset 0
		.amdhsa_system_sgpr_workgroup_id_x 1
		.amdhsa_system_sgpr_workgroup_id_y 0
		.amdhsa_system_sgpr_workgroup_id_z 0
		.amdhsa_system_sgpr_workgroup_info 0
		.amdhsa_system_vgpr_workitem_id 0
		.amdhsa_next_free_vgpr 5
		.amdhsa_next_free_sgpr 8
		.amdhsa_accum_offset 8
		.amdhsa_reserve_vcc 1
		.amdhsa_reserve_flat_scratch 0
		.amdhsa_float_round_mode_32 0
		.amdhsa_float_round_mode_16_64 0
		.amdhsa_float_denorm_mode_32 3
		.amdhsa_float_denorm_mode_16_64 3
		.amdhsa_dx10_clamp 1
		.amdhsa_ieee_mode 1
		.amdhsa_fp16_overflow 0
		.amdhsa_tg_split 0
		.amdhsa_exception_fp_ieee_invalid_op 0
		.amdhsa_exception_fp_denorm_src 0
		.amdhsa_exception_fp_ieee_div_zero 0
		.amdhsa_exception_fp_ieee_overflow 0
		.amdhsa_exception_fp_ieee_underflow 0
		.amdhsa_exception_fp_ieee_inexact 0
		.amdhsa_exception_int_div_zero 0
	.end_amdhsa_kernel
	.section	.text._ZN9rocsparseL25kernel_set_permuted_arrayILj512EdiEEvT1_PT0_PKS2_PKS1_,"axG",@progbits,_ZN9rocsparseL25kernel_set_permuted_arrayILj512EdiEEvT1_PT0_PKS2_PKS1_,comdat
.Lfunc_end32:
	.size	_ZN9rocsparseL25kernel_set_permuted_arrayILj512EdiEEvT1_PT0_PKS2_PKS1_, .Lfunc_end32-_ZN9rocsparseL25kernel_set_permuted_arrayILj512EdiEEvT1_PT0_PKS2_PKS1_
                                        ; -- End function
	.section	.AMDGPU.csdata,"",@progbits
; Kernel info:
; codeLenInByte = 172
; NumSgprs: 12
; NumVgprs: 5
; NumAgprs: 0
; TotalNumVgprs: 5
; ScratchSize: 0
; MemoryBound: 0
; FloatMode: 240
; IeeeMode: 1
; LDSByteSize: 0 bytes/workgroup (compile time only)
; SGPRBlocks: 1
; VGPRBlocks: 0
; NumSGPRsForWavesPerEU: 12
; NumVGPRsForWavesPerEU: 5
; AccumOffset: 8
; Occupancy: 8
; WaveLimiterHint : 1
; COMPUTE_PGM_RSRC2:SCRATCH_EN: 0
; COMPUTE_PGM_RSRC2:USER_SGPR: 6
; COMPUTE_PGM_RSRC2:TRAP_HANDLER: 0
; COMPUTE_PGM_RSRC2:TGID_X_EN: 1
; COMPUTE_PGM_RSRC2:TGID_Y_EN: 0
; COMPUTE_PGM_RSRC2:TGID_Z_EN: 0
; COMPUTE_PGM_RSRC2:TIDIG_COMP_CNT: 0
; COMPUTE_PGM_RSRC3_GFX90A:ACCUM_OFFSET: 1
; COMPUTE_PGM_RSRC3_GFX90A:TG_SPLIT: 0
	.section	.text._ZN9rocsparseL25kernel_set_identity_arrayILj512E21rocsparse_complex_numIfEiEEvT1_PT0_,"axG",@progbits,_ZN9rocsparseL25kernel_set_identity_arrayILj512E21rocsparse_complex_numIfEiEEvT1_PT0_,comdat
	.globl	_ZN9rocsparseL25kernel_set_identity_arrayILj512E21rocsparse_complex_numIfEiEEvT1_PT0_ ; -- Begin function _ZN9rocsparseL25kernel_set_identity_arrayILj512E21rocsparse_complex_numIfEiEEvT1_PT0_
	.p2align	8
	.type	_ZN9rocsparseL25kernel_set_identity_arrayILj512E21rocsparse_complex_numIfEiEEvT1_PT0_,@function
_ZN9rocsparseL25kernel_set_identity_arrayILj512E21rocsparse_complex_numIfEiEEvT1_PT0_: ; @_ZN9rocsparseL25kernel_set_identity_arrayILj512E21rocsparse_complex_numIfEiEEvT1_PT0_
; %bb.0:
	s_load_dword s0, s[4:5], 0x1c
	s_load_dword s1, s[4:5], 0x0
	s_waitcnt lgkmcnt(0)
	s_and_b32 s0, s0, 0xffff
	s_mul_i32 s6, s6, s0
	v_add_u32_e32 v0, s6, v0
	v_cmp_gt_i32_e32 vcc, s1, v0
	s_and_saveexec_b64 s[0:1], vcc
	s_cbranch_execz .LBB33_2
; %bb.1:
	s_load_dwordx2 s[0:1], s[4:5], 0x8
	v_ashrrev_i32_e32 v1, 31, v0
	v_lshlrev_b64 v[0:1], 3, v[0:1]
	v_mov_b32_e32 v3, 0
	s_waitcnt lgkmcnt(0)
	v_mov_b32_e32 v2, s1
	v_add_co_u32_e32 v0, vcc, s0, v0
	v_addc_co_u32_e32 v1, vcc, v2, v1, vcc
	v_mov_b32_e32 v2, 1.0
	global_store_dwordx2 v[0:1], v[2:3], off
.LBB33_2:
	s_endpgm
	.section	.rodata,"a",@progbits
	.p2align	6, 0x0
	.amdhsa_kernel _ZN9rocsparseL25kernel_set_identity_arrayILj512E21rocsparse_complex_numIfEiEEvT1_PT0_
		.amdhsa_group_segment_fixed_size 0
		.amdhsa_private_segment_fixed_size 0
		.amdhsa_kernarg_size 272
		.amdhsa_user_sgpr_count 6
		.amdhsa_user_sgpr_private_segment_buffer 1
		.amdhsa_user_sgpr_dispatch_ptr 0
		.amdhsa_user_sgpr_queue_ptr 0
		.amdhsa_user_sgpr_kernarg_segment_ptr 1
		.amdhsa_user_sgpr_dispatch_id 0
		.amdhsa_user_sgpr_flat_scratch_init 0
		.amdhsa_user_sgpr_kernarg_preload_length 0
		.amdhsa_user_sgpr_kernarg_preload_offset 0
		.amdhsa_user_sgpr_private_segment_size 0
		.amdhsa_uses_dynamic_stack 0
		.amdhsa_system_sgpr_private_segment_wavefront_offset 0
		.amdhsa_system_sgpr_workgroup_id_x 1
		.amdhsa_system_sgpr_workgroup_id_y 0
		.amdhsa_system_sgpr_workgroup_id_z 0
		.amdhsa_system_sgpr_workgroup_info 0
		.amdhsa_system_vgpr_workitem_id 0
		.amdhsa_next_free_vgpr 4
		.amdhsa_next_free_sgpr 7
		.amdhsa_accum_offset 4
		.amdhsa_reserve_vcc 1
		.amdhsa_reserve_flat_scratch 0
		.amdhsa_float_round_mode_32 0
		.amdhsa_float_round_mode_16_64 0
		.amdhsa_float_denorm_mode_32 3
		.amdhsa_float_denorm_mode_16_64 3
		.amdhsa_dx10_clamp 1
		.amdhsa_ieee_mode 1
		.amdhsa_fp16_overflow 0
		.amdhsa_tg_split 0
		.amdhsa_exception_fp_ieee_invalid_op 0
		.amdhsa_exception_fp_denorm_src 0
		.amdhsa_exception_fp_ieee_div_zero 0
		.amdhsa_exception_fp_ieee_overflow 0
		.amdhsa_exception_fp_ieee_underflow 0
		.amdhsa_exception_fp_ieee_inexact 0
		.amdhsa_exception_int_div_zero 0
	.end_amdhsa_kernel
	.section	.text._ZN9rocsparseL25kernel_set_identity_arrayILj512E21rocsparse_complex_numIfEiEEvT1_PT0_,"axG",@progbits,_ZN9rocsparseL25kernel_set_identity_arrayILj512E21rocsparse_complex_numIfEiEEvT1_PT0_,comdat
.Lfunc_end33:
	.size	_ZN9rocsparseL25kernel_set_identity_arrayILj512E21rocsparse_complex_numIfEiEEvT1_PT0_, .Lfunc_end33-_ZN9rocsparseL25kernel_set_identity_arrayILj512E21rocsparse_complex_numIfEiEEvT1_PT0_
                                        ; -- End function
	.section	.AMDGPU.csdata,"",@progbits
; Kernel info:
; codeLenInByte = 104
; NumSgprs: 11
; NumVgprs: 4
; NumAgprs: 0
; TotalNumVgprs: 4
; ScratchSize: 0
; MemoryBound: 0
; FloatMode: 240
; IeeeMode: 1
; LDSByteSize: 0 bytes/workgroup (compile time only)
; SGPRBlocks: 1
; VGPRBlocks: 0
; NumSGPRsForWavesPerEU: 11
; NumVGPRsForWavesPerEU: 4
; AccumOffset: 4
; Occupancy: 8
; WaveLimiterHint : 0
; COMPUTE_PGM_RSRC2:SCRATCH_EN: 0
; COMPUTE_PGM_RSRC2:USER_SGPR: 6
; COMPUTE_PGM_RSRC2:TRAP_HANDLER: 0
; COMPUTE_PGM_RSRC2:TGID_X_EN: 1
; COMPUTE_PGM_RSRC2:TGID_Y_EN: 0
; COMPUTE_PGM_RSRC2:TGID_Z_EN: 0
; COMPUTE_PGM_RSRC2:TIDIG_COMP_CNT: 0
; COMPUTE_PGM_RSRC3_GFX90A:ACCUM_OFFSET: 0
; COMPUTE_PGM_RSRC3_GFX90A:TG_SPLIT: 0
	.section	.text._ZN9rocsparseL25kernel_get_permuted_arrayILj512E21rocsparse_complex_numIfEiEEvT1_PKT0_PS4_PKS3_,"axG",@progbits,_ZN9rocsparseL25kernel_get_permuted_arrayILj512E21rocsparse_complex_numIfEiEEvT1_PKT0_PS4_PKS3_,comdat
	.globl	_ZN9rocsparseL25kernel_get_permuted_arrayILj512E21rocsparse_complex_numIfEiEEvT1_PKT0_PS4_PKS3_ ; -- Begin function _ZN9rocsparseL25kernel_get_permuted_arrayILj512E21rocsparse_complex_numIfEiEEvT1_PKT0_PS4_PKS3_
	.p2align	8
	.type	_ZN9rocsparseL25kernel_get_permuted_arrayILj512E21rocsparse_complex_numIfEiEEvT1_PKT0_PS4_PKS3_,@function
_ZN9rocsparseL25kernel_get_permuted_arrayILj512E21rocsparse_complex_numIfEiEEvT1_PKT0_PS4_PKS3_: ; @_ZN9rocsparseL25kernel_get_permuted_arrayILj512E21rocsparse_complex_numIfEiEEvT1_PKT0_PS4_PKS3_
; %bb.0:
	s_load_dword s0, s[4:5], 0x2c
	s_load_dword s1, s[4:5], 0x0
	s_waitcnt lgkmcnt(0)
	s_and_b32 s0, s0, 0xffff
	s_mul_i32 s6, s6, s0
	v_add_u32_e32 v0, s6, v0
	v_cmp_gt_i32_e32 vcc, s1, v0
	s_and_saveexec_b64 s[0:1], vcc
	s_cbranch_execz .LBB34_2
; %bb.1:
	s_load_dwordx2 s[0:1], s[4:5], 0x18
	v_ashrrev_i32_e32 v1, 31, v0
	v_lshlrev_b64 v[2:3], 2, v[0:1]
	v_lshlrev_b64 v[0:1], 3, v[0:1]
	s_waitcnt lgkmcnt(0)
	v_mov_b32_e32 v4, s1
	v_add_co_u32_e32 v2, vcc, s0, v2
	v_addc_co_u32_e32 v3, vcc, v4, v3, vcc
	global_load_dword v2, v[2:3], off
	s_load_dwordx4 s[0:3], s[4:5], 0x8
	s_waitcnt lgkmcnt(0)
	v_mov_b32_e32 v4, s1
	s_waitcnt vmcnt(0)
	v_ashrrev_i32_e32 v3, 31, v2
	v_lshlrev_b64 v[2:3], 3, v[2:3]
	v_add_co_u32_e32 v2, vcc, s0, v2
	v_addc_co_u32_e32 v3, vcc, v4, v3, vcc
	global_load_dwordx2 v[2:3], v[2:3], off
	v_mov_b32_e32 v4, s3
	v_add_co_u32_e32 v0, vcc, s2, v0
	v_addc_co_u32_e32 v1, vcc, v4, v1, vcc
	s_waitcnt vmcnt(0)
	global_store_dwordx2 v[0:1], v[2:3], off
.LBB34_2:
	s_endpgm
	.section	.rodata,"a",@progbits
	.p2align	6, 0x0
	.amdhsa_kernel _ZN9rocsparseL25kernel_get_permuted_arrayILj512E21rocsparse_complex_numIfEiEEvT1_PKT0_PS4_PKS3_
		.amdhsa_group_segment_fixed_size 0
		.amdhsa_private_segment_fixed_size 0
		.amdhsa_kernarg_size 288
		.amdhsa_user_sgpr_count 6
		.amdhsa_user_sgpr_private_segment_buffer 1
		.amdhsa_user_sgpr_dispatch_ptr 0
		.amdhsa_user_sgpr_queue_ptr 0
		.amdhsa_user_sgpr_kernarg_segment_ptr 1
		.amdhsa_user_sgpr_dispatch_id 0
		.amdhsa_user_sgpr_flat_scratch_init 0
		.amdhsa_user_sgpr_kernarg_preload_length 0
		.amdhsa_user_sgpr_kernarg_preload_offset 0
		.amdhsa_user_sgpr_private_segment_size 0
		.amdhsa_uses_dynamic_stack 0
		.amdhsa_system_sgpr_private_segment_wavefront_offset 0
		.amdhsa_system_sgpr_workgroup_id_x 1
		.amdhsa_system_sgpr_workgroup_id_y 0
		.amdhsa_system_sgpr_workgroup_id_z 0
		.amdhsa_system_sgpr_workgroup_info 0
		.amdhsa_system_vgpr_workitem_id 0
		.amdhsa_next_free_vgpr 5
		.amdhsa_next_free_sgpr 7
		.amdhsa_accum_offset 8
		.amdhsa_reserve_vcc 1
		.amdhsa_reserve_flat_scratch 0
		.amdhsa_float_round_mode_32 0
		.amdhsa_float_round_mode_16_64 0
		.amdhsa_float_denorm_mode_32 3
		.amdhsa_float_denorm_mode_16_64 3
		.amdhsa_dx10_clamp 1
		.amdhsa_ieee_mode 1
		.amdhsa_fp16_overflow 0
		.amdhsa_tg_split 0
		.amdhsa_exception_fp_ieee_invalid_op 0
		.amdhsa_exception_fp_denorm_src 0
		.amdhsa_exception_fp_ieee_div_zero 0
		.amdhsa_exception_fp_ieee_overflow 0
		.amdhsa_exception_fp_ieee_underflow 0
		.amdhsa_exception_fp_ieee_inexact 0
		.amdhsa_exception_int_div_zero 0
	.end_amdhsa_kernel
	.section	.text._ZN9rocsparseL25kernel_get_permuted_arrayILj512E21rocsparse_complex_numIfEiEEvT1_PKT0_PS4_PKS3_,"axG",@progbits,_ZN9rocsparseL25kernel_get_permuted_arrayILj512E21rocsparse_complex_numIfEiEEvT1_PKT0_PS4_PKS3_,comdat
.Lfunc_end34:
	.size	_ZN9rocsparseL25kernel_get_permuted_arrayILj512E21rocsparse_complex_numIfEiEEvT1_PKT0_PS4_PKS3_, .Lfunc_end34-_ZN9rocsparseL25kernel_get_permuted_arrayILj512E21rocsparse_complex_numIfEiEEvT1_PKT0_PS4_PKS3_
                                        ; -- End function
	.section	.AMDGPU.csdata,"",@progbits
; Kernel info:
; codeLenInByte = 176
; NumSgprs: 11
; NumVgprs: 5
; NumAgprs: 0
; TotalNumVgprs: 5
; ScratchSize: 0
; MemoryBound: 0
; FloatMode: 240
; IeeeMode: 1
; LDSByteSize: 0 bytes/workgroup (compile time only)
; SGPRBlocks: 1
; VGPRBlocks: 0
; NumSGPRsForWavesPerEU: 11
; NumVGPRsForWavesPerEU: 5
; AccumOffset: 8
; Occupancy: 8
; WaveLimiterHint : 1
; COMPUTE_PGM_RSRC2:SCRATCH_EN: 0
; COMPUTE_PGM_RSRC2:USER_SGPR: 6
; COMPUTE_PGM_RSRC2:TRAP_HANDLER: 0
; COMPUTE_PGM_RSRC2:TGID_X_EN: 1
; COMPUTE_PGM_RSRC2:TGID_Y_EN: 0
; COMPUTE_PGM_RSRC2:TGID_Z_EN: 0
; COMPUTE_PGM_RSRC2:TIDIG_COMP_CNT: 0
; COMPUTE_PGM_RSRC3_GFX90A:ACCUM_OFFSET: 1
; COMPUTE_PGM_RSRC3_GFX90A:TG_SPLIT: 0
	.section	.text._ZN9rocsparseL25kernel_set_permuted_arrayILj512E21rocsparse_complex_numIfEiEEvT1_PT0_PKS4_PKS3_,"axG",@progbits,_ZN9rocsparseL25kernel_set_permuted_arrayILj512E21rocsparse_complex_numIfEiEEvT1_PT0_PKS4_PKS3_,comdat
	.globl	_ZN9rocsparseL25kernel_set_permuted_arrayILj512E21rocsparse_complex_numIfEiEEvT1_PT0_PKS4_PKS3_ ; -- Begin function _ZN9rocsparseL25kernel_set_permuted_arrayILj512E21rocsparse_complex_numIfEiEEvT1_PT0_PKS4_PKS3_
	.p2align	8
	.type	_ZN9rocsparseL25kernel_set_permuted_arrayILj512E21rocsparse_complex_numIfEiEEvT1_PT0_PKS4_PKS3_,@function
_ZN9rocsparseL25kernel_set_permuted_arrayILj512E21rocsparse_complex_numIfEiEEvT1_PT0_PKS4_PKS3_: ; @_ZN9rocsparseL25kernel_set_permuted_arrayILj512E21rocsparse_complex_numIfEiEEvT1_PT0_PKS4_PKS3_
; %bb.0:
	s_load_dword s0, s[4:5], 0x2c
	s_load_dword s1, s[4:5], 0x0
	s_waitcnt lgkmcnt(0)
	s_and_b32 s0, s0, 0xffff
	s_mul_i32 s6, s6, s0
	v_add_u32_e32 v0, s6, v0
	v_cmp_gt_i32_e32 vcc, s1, v0
	s_and_saveexec_b64 s[0:1], vcc
	s_cbranch_execz .LBB35_2
; %bb.1:
	s_load_dwordx2 s[6:7], s[4:5], 0x18
	s_load_dwordx4 s[0:3], s[4:5], 0x8
	v_ashrrev_i32_e32 v1, 31, v0
	v_lshlrev_b64 v[2:3], 3, v[0:1]
	v_lshlrev_b64 v[0:1], 2, v[0:1]
	s_waitcnt lgkmcnt(0)
	v_mov_b32_e32 v4, s7
	v_add_co_u32_e32 v0, vcc, s6, v0
	v_addc_co_u32_e32 v1, vcc, v4, v1, vcc
	global_load_dword v0, v[0:1], off
	v_mov_b32_e32 v1, s3
	v_add_co_u32_e32 v2, vcc, s2, v2
	v_addc_co_u32_e32 v3, vcc, v1, v3, vcc
	global_load_dwordx2 v[2:3], v[2:3], off
	v_mov_b32_e32 v4, s1
	s_waitcnt vmcnt(1)
	v_ashrrev_i32_e32 v1, 31, v0
	v_lshlrev_b64 v[0:1], 3, v[0:1]
	v_add_co_u32_e32 v0, vcc, s0, v0
	v_addc_co_u32_e32 v1, vcc, v4, v1, vcc
	s_waitcnt vmcnt(0)
	global_store_dwordx2 v[0:1], v[2:3], off
.LBB35_2:
	s_endpgm
	.section	.rodata,"a",@progbits
	.p2align	6, 0x0
	.amdhsa_kernel _ZN9rocsparseL25kernel_set_permuted_arrayILj512E21rocsparse_complex_numIfEiEEvT1_PT0_PKS4_PKS3_
		.amdhsa_group_segment_fixed_size 0
		.amdhsa_private_segment_fixed_size 0
		.amdhsa_kernarg_size 288
		.amdhsa_user_sgpr_count 6
		.amdhsa_user_sgpr_private_segment_buffer 1
		.amdhsa_user_sgpr_dispatch_ptr 0
		.amdhsa_user_sgpr_queue_ptr 0
		.amdhsa_user_sgpr_kernarg_segment_ptr 1
		.amdhsa_user_sgpr_dispatch_id 0
		.amdhsa_user_sgpr_flat_scratch_init 0
		.amdhsa_user_sgpr_kernarg_preload_length 0
		.amdhsa_user_sgpr_kernarg_preload_offset 0
		.amdhsa_user_sgpr_private_segment_size 0
		.amdhsa_uses_dynamic_stack 0
		.amdhsa_system_sgpr_private_segment_wavefront_offset 0
		.amdhsa_system_sgpr_workgroup_id_x 1
		.amdhsa_system_sgpr_workgroup_id_y 0
		.amdhsa_system_sgpr_workgroup_id_z 0
		.amdhsa_system_sgpr_workgroup_info 0
		.amdhsa_system_vgpr_workitem_id 0
		.amdhsa_next_free_vgpr 5
		.amdhsa_next_free_sgpr 8
		.amdhsa_accum_offset 8
		.amdhsa_reserve_vcc 1
		.amdhsa_reserve_flat_scratch 0
		.amdhsa_float_round_mode_32 0
		.amdhsa_float_round_mode_16_64 0
		.amdhsa_float_denorm_mode_32 3
		.amdhsa_float_denorm_mode_16_64 3
		.amdhsa_dx10_clamp 1
		.amdhsa_ieee_mode 1
		.amdhsa_fp16_overflow 0
		.amdhsa_tg_split 0
		.amdhsa_exception_fp_ieee_invalid_op 0
		.amdhsa_exception_fp_denorm_src 0
		.amdhsa_exception_fp_ieee_div_zero 0
		.amdhsa_exception_fp_ieee_overflow 0
		.amdhsa_exception_fp_ieee_underflow 0
		.amdhsa_exception_fp_ieee_inexact 0
		.amdhsa_exception_int_div_zero 0
	.end_amdhsa_kernel
	.section	.text._ZN9rocsparseL25kernel_set_permuted_arrayILj512E21rocsparse_complex_numIfEiEEvT1_PT0_PKS4_PKS3_,"axG",@progbits,_ZN9rocsparseL25kernel_set_permuted_arrayILj512E21rocsparse_complex_numIfEiEEvT1_PT0_PKS4_PKS3_,comdat
.Lfunc_end35:
	.size	_ZN9rocsparseL25kernel_set_permuted_arrayILj512E21rocsparse_complex_numIfEiEEvT1_PT0_PKS4_PKS3_, .Lfunc_end35-_ZN9rocsparseL25kernel_set_permuted_arrayILj512E21rocsparse_complex_numIfEiEEvT1_PT0_PKS4_PKS3_
                                        ; -- End function
	.section	.AMDGPU.csdata,"",@progbits
; Kernel info:
; codeLenInByte = 172
; NumSgprs: 12
; NumVgprs: 5
; NumAgprs: 0
; TotalNumVgprs: 5
; ScratchSize: 0
; MemoryBound: 0
; FloatMode: 240
; IeeeMode: 1
; LDSByteSize: 0 bytes/workgroup (compile time only)
; SGPRBlocks: 1
; VGPRBlocks: 0
; NumSGPRsForWavesPerEU: 12
; NumVGPRsForWavesPerEU: 5
; AccumOffset: 8
; Occupancy: 8
; WaveLimiterHint : 1
; COMPUTE_PGM_RSRC2:SCRATCH_EN: 0
; COMPUTE_PGM_RSRC2:USER_SGPR: 6
; COMPUTE_PGM_RSRC2:TRAP_HANDLER: 0
; COMPUTE_PGM_RSRC2:TGID_X_EN: 1
; COMPUTE_PGM_RSRC2:TGID_Y_EN: 0
; COMPUTE_PGM_RSRC2:TGID_Z_EN: 0
; COMPUTE_PGM_RSRC2:TIDIG_COMP_CNT: 0
; COMPUTE_PGM_RSRC3_GFX90A:ACCUM_OFFSET: 1
; COMPUTE_PGM_RSRC3_GFX90A:TG_SPLIT: 0
	.section	.text._ZN9rocsparseL25kernel_set_identity_arrayILj512E21rocsparse_complex_numIdEiEEvT1_PT0_,"axG",@progbits,_ZN9rocsparseL25kernel_set_identity_arrayILj512E21rocsparse_complex_numIdEiEEvT1_PT0_,comdat
	.globl	_ZN9rocsparseL25kernel_set_identity_arrayILj512E21rocsparse_complex_numIdEiEEvT1_PT0_ ; -- Begin function _ZN9rocsparseL25kernel_set_identity_arrayILj512E21rocsparse_complex_numIdEiEEvT1_PT0_
	.p2align	8
	.type	_ZN9rocsparseL25kernel_set_identity_arrayILj512E21rocsparse_complex_numIdEiEEvT1_PT0_,@function
_ZN9rocsparseL25kernel_set_identity_arrayILj512E21rocsparse_complex_numIdEiEEvT1_PT0_: ; @_ZN9rocsparseL25kernel_set_identity_arrayILj512E21rocsparse_complex_numIdEiEEvT1_PT0_
; %bb.0:
	s_load_dword s0, s[4:5], 0x1c
	s_load_dword s1, s[4:5], 0x0
	s_waitcnt lgkmcnt(0)
	s_and_b32 s0, s0, 0xffff
	s_mul_i32 s6, s6, s0
	v_add_u32_e32 v0, s6, v0
	v_cmp_gt_i32_e32 vcc, s1, v0
	s_and_saveexec_b64 s[0:1], vcc
	s_cbranch_execz .LBB36_2
; %bb.1:
	s_load_dwordx2 s[0:1], s[4:5], 0x8
	v_ashrrev_i32_e32 v1, 31, v0
	v_lshlrev_b64 v[0:1], 4, v[0:1]
	s_waitcnt lgkmcnt(0)
	v_mov_b32_e32 v2, s1
	v_add_co_u32_e32 v4, vcc, s0, v0
	v_mov_b32_e32 v0, 0
	v_addc_co_u32_e32 v5, vcc, v2, v1, vcc
	v_mov_b32_e32 v1, 0x3ff00000
	v_mov_b32_e32 v2, v0
	;; [unrolled: 1-line block ×3, first 2 shown]
	global_store_dwordx4 v[4:5], v[0:3], off
.LBB36_2:
	s_endpgm
	.section	.rodata,"a",@progbits
	.p2align	6, 0x0
	.amdhsa_kernel _ZN9rocsparseL25kernel_set_identity_arrayILj512E21rocsparse_complex_numIdEiEEvT1_PT0_
		.amdhsa_group_segment_fixed_size 0
		.amdhsa_private_segment_fixed_size 0
		.amdhsa_kernarg_size 272
		.amdhsa_user_sgpr_count 6
		.amdhsa_user_sgpr_private_segment_buffer 1
		.amdhsa_user_sgpr_dispatch_ptr 0
		.amdhsa_user_sgpr_queue_ptr 0
		.amdhsa_user_sgpr_kernarg_segment_ptr 1
		.amdhsa_user_sgpr_dispatch_id 0
		.amdhsa_user_sgpr_flat_scratch_init 0
		.amdhsa_user_sgpr_kernarg_preload_length 0
		.amdhsa_user_sgpr_kernarg_preload_offset 0
		.amdhsa_user_sgpr_private_segment_size 0
		.amdhsa_uses_dynamic_stack 0
		.amdhsa_system_sgpr_private_segment_wavefront_offset 0
		.amdhsa_system_sgpr_workgroup_id_x 1
		.amdhsa_system_sgpr_workgroup_id_y 0
		.amdhsa_system_sgpr_workgroup_id_z 0
		.amdhsa_system_sgpr_workgroup_info 0
		.amdhsa_system_vgpr_workitem_id 0
		.amdhsa_next_free_vgpr 6
		.amdhsa_next_free_sgpr 7
		.amdhsa_accum_offset 8
		.amdhsa_reserve_vcc 1
		.amdhsa_reserve_flat_scratch 0
		.amdhsa_float_round_mode_32 0
		.amdhsa_float_round_mode_16_64 0
		.amdhsa_float_denorm_mode_32 3
		.amdhsa_float_denorm_mode_16_64 3
		.amdhsa_dx10_clamp 1
		.amdhsa_ieee_mode 1
		.amdhsa_fp16_overflow 0
		.amdhsa_tg_split 0
		.amdhsa_exception_fp_ieee_invalid_op 0
		.amdhsa_exception_fp_denorm_src 0
		.amdhsa_exception_fp_ieee_div_zero 0
		.amdhsa_exception_fp_ieee_overflow 0
		.amdhsa_exception_fp_ieee_underflow 0
		.amdhsa_exception_fp_ieee_inexact 0
		.amdhsa_exception_int_div_zero 0
	.end_amdhsa_kernel
	.section	.text._ZN9rocsparseL25kernel_set_identity_arrayILj512E21rocsparse_complex_numIdEiEEvT1_PT0_,"axG",@progbits,_ZN9rocsparseL25kernel_set_identity_arrayILj512E21rocsparse_complex_numIdEiEEvT1_PT0_,comdat
.Lfunc_end36:
	.size	_ZN9rocsparseL25kernel_set_identity_arrayILj512E21rocsparse_complex_numIdEiEEvT1_PT0_, .Lfunc_end36-_ZN9rocsparseL25kernel_set_identity_arrayILj512E21rocsparse_complex_numIdEiEEvT1_PT0_
                                        ; -- End function
	.section	.AMDGPU.csdata,"",@progbits
; Kernel info:
; codeLenInByte = 116
; NumSgprs: 11
; NumVgprs: 6
; NumAgprs: 0
; TotalNumVgprs: 6
; ScratchSize: 0
; MemoryBound: 0
; FloatMode: 240
; IeeeMode: 1
; LDSByteSize: 0 bytes/workgroup (compile time only)
; SGPRBlocks: 1
; VGPRBlocks: 0
; NumSGPRsForWavesPerEU: 11
; NumVGPRsForWavesPerEU: 6
; AccumOffset: 8
; Occupancy: 8
; WaveLimiterHint : 0
; COMPUTE_PGM_RSRC2:SCRATCH_EN: 0
; COMPUTE_PGM_RSRC2:USER_SGPR: 6
; COMPUTE_PGM_RSRC2:TRAP_HANDLER: 0
; COMPUTE_PGM_RSRC2:TGID_X_EN: 1
; COMPUTE_PGM_RSRC2:TGID_Y_EN: 0
; COMPUTE_PGM_RSRC2:TGID_Z_EN: 0
; COMPUTE_PGM_RSRC2:TIDIG_COMP_CNT: 0
; COMPUTE_PGM_RSRC3_GFX90A:ACCUM_OFFSET: 1
; COMPUTE_PGM_RSRC3_GFX90A:TG_SPLIT: 0
	.section	.text._ZN9rocsparseL25kernel_get_permuted_arrayILj512E21rocsparse_complex_numIdEiEEvT1_PKT0_PS4_PKS3_,"axG",@progbits,_ZN9rocsparseL25kernel_get_permuted_arrayILj512E21rocsparse_complex_numIdEiEEvT1_PKT0_PS4_PKS3_,comdat
	.globl	_ZN9rocsparseL25kernel_get_permuted_arrayILj512E21rocsparse_complex_numIdEiEEvT1_PKT0_PS4_PKS3_ ; -- Begin function _ZN9rocsparseL25kernel_get_permuted_arrayILj512E21rocsparse_complex_numIdEiEEvT1_PKT0_PS4_PKS3_
	.p2align	8
	.type	_ZN9rocsparseL25kernel_get_permuted_arrayILj512E21rocsparse_complex_numIdEiEEvT1_PKT0_PS4_PKS3_,@function
_ZN9rocsparseL25kernel_get_permuted_arrayILj512E21rocsparse_complex_numIdEiEEvT1_PKT0_PS4_PKS3_: ; @_ZN9rocsparseL25kernel_get_permuted_arrayILj512E21rocsparse_complex_numIdEiEEvT1_PKT0_PS4_PKS3_
; %bb.0:
	s_load_dword s0, s[4:5], 0x2c
	s_load_dword s1, s[4:5], 0x0
	s_waitcnt lgkmcnt(0)
	s_and_b32 s0, s0, 0xffff
	s_mul_i32 s6, s6, s0
	v_add_u32_e32 v0, s6, v0
	v_cmp_gt_i32_e32 vcc, s1, v0
	s_and_saveexec_b64 s[0:1], vcc
	s_cbranch_execz .LBB37_2
; %bb.1:
	s_load_dwordx2 s[0:1], s[4:5], 0x18
	v_ashrrev_i32_e32 v1, 31, v0
	v_lshlrev_b64 v[2:3], 2, v[0:1]
	v_lshlrev_b64 v[0:1], 4, v[0:1]
	s_waitcnt lgkmcnt(0)
	v_mov_b32_e32 v4, s1
	v_add_co_u32_e32 v2, vcc, s0, v2
	v_addc_co_u32_e32 v3, vcc, v4, v3, vcc
	global_load_dword v2, v[2:3], off
	s_load_dwordx4 s[0:3], s[4:5], 0x8
	s_waitcnt lgkmcnt(0)
	v_mov_b32_e32 v4, s1
	v_mov_b32_e32 v6, s3
	s_waitcnt vmcnt(0)
	v_ashrrev_i32_e32 v3, 31, v2
	v_lshlrev_b64 v[2:3], 4, v[2:3]
	v_add_co_u32_e32 v2, vcc, s0, v2
	v_addc_co_u32_e32 v3, vcc, v4, v3, vcc
	global_load_dwordx4 v[2:5], v[2:3], off
	v_add_co_u32_e32 v0, vcc, s2, v0
	v_addc_co_u32_e32 v1, vcc, v6, v1, vcc
	s_waitcnt vmcnt(0)
	global_store_dwordx4 v[0:1], v[2:5], off
.LBB37_2:
	s_endpgm
	.section	.rodata,"a",@progbits
	.p2align	6, 0x0
	.amdhsa_kernel _ZN9rocsparseL25kernel_get_permuted_arrayILj512E21rocsparse_complex_numIdEiEEvT1_PKT0_PS4_PKS3_
		.amdhsa_group_segment_fixed_size 0
		.amdhsa_private_segment_fixed_size 0
		.amdhsa_kernarg_size 288
		.amdhsa_user_sgpr_count 6
		.amdhsa_user_sgpr_private_segment_buffer 1
		.amdhsa_user_sgpr_dispatch_ptr 0
		.amdhsa_user_sgpr_queue_ptr 0
		.amdhsa_user_sgpr_kernarg_segment_ptr 1
		.amdhsa_user_sgpr_dispatch_id 0
		.amdhsa_user_sgpr_flat_scratch_init 0
		.amdhsa_user_sgpr_kernarg_preload_length 0
		.amdhsa_user_sgpr_kernarg_preload_offset 0
		.amdhsa_user_sgpr_private_segment_size 0
		.amdhsa_uses_dynamic_stack 0
		.amdhsa_system_sgpr_private_segment_wavefront_offset 0
		.amdhsa_system_sgpr_workgroup_id_x 1
		.amdhsa_system_sgpr_workgroup_id_y 0
		.amdhsa_system_sgpr_workgroup_id_z 0
		.amdhsa_system_sgpr_workgroup_info 0
		.amdhsa_system_vgpr_workitem_id 0
		.amdhsa_next_free_vgpr 7
		.amdhsa_next_free_sgpr 7
		.amdhsa_accum_offset 8
		.amdhsa_reserve_vcc 1
		.amdhsa_reserve_flat_scratch 0
		.amdhsa_float_round_mode_32 0
		.amdhsa_float_round_mode_16_64 0
		.amdhsa_float_denorm_mode_32 3
		.amdhsa_float_denorm_mode_16_64 3
		.amdhsa_dx10_clamp 1
		.amdhsa_ieee_mode 1
		.amdhsa_fp16_overflow 0
		.amdhsa_tg_split 0
		.amdhsa_exception_fp_ieee_invalid_op 0
		.amdhsa_exception_fp_denorm_src 0
		.amdhsa_exception_fp_ieee_div_zero 0
		.amdhsa_exception_fp_ieee_overflow 0
		.amdhsa_exception_fp_ieee_underflow 0
		.amdhsa_exception_fp_ieee_inexact 0
		.amdhsa_exception_int_div_zero 0
	.end_amdhsa_kernel
	.section	.text._ZN9rocsparseL25kernel_get_permuted_arrayILj512E21rocsparse_complex_numIdEiEEvT1_PKT0_PS4_PKS3_,"axG",@progbits,_ZN9rocsparseL25kernel_get_permuted_arrayILj512E21rocsparse_complex_numIdEiEEvT1_PKT0_PS4_PKS3_,comdat
.Lfunc_end37:
	.size	_ZN9rocsparseL25kernel_get_permuted_arrayILj512E21rocsparse_complex_numIdEiEEvT1_PKT0_PS4_PKS3_, .Lfunc_end37-_ZN9rocsparseL25kernel_get_permuted_arrayILj512E21rocsparse_complex_numIdEiEEvT1_PKT0_PS4_PKS3_
                                        ; -- End function
	.section	.AMDGPU.csdata,"",@progbits
; Kernel info:
; codeLenInByte = 176
; NumSgprs: 11
; NumVgprs: 7
; NumAgprs: 0
; TotalNumVgprs: 7
; ScratchSize: 0
; MemoryBound: 0
; FloatMode: 240
; IeeeMode: 1
; LDSByteSize: 0 bytes/workgroup (compile time only)
; SGPRBlocks: 1
; VGPRBlocks: 0
; NumSGPRsForWavesPerEU: 11
; NumVGPRsForWavesPerEU: 7
; AccumOffset: 8
; Occupancy: 8
; WaveLimiterHint : 0
; COMPUTE_PGM_RSRC2:SCRATCH_EN: 0
; COMPUTE_PGM_RSRC2:USER_SGPR: 6
; COMPUTE_PGM_RSRC2:TRAP_HANDLER: 0
; COMPUTE_PGM_RSRC2:TGID_X_EN: 1
; COMPUTE_PGM_RSRC2:TGID_Y_EN: 0
; COMPUTE_PGM_RSRC2:TGID_Z_EN: 0
; COMPUTE_PGM_RSRC2:TIDIG_COMP_CNT: 0
; COMPUTE_PGM_RSRC3_GFX90A:ACCUM_OFFSET: 1
; COMPUTE_PGM_RSRC3_GFX90A:TG_SPLIT: 0
	.section	.text._ZN9rocsparseL25kernel_set_permuted_arrayILj512E21rocsparse_complex_numIdEiEEvT1_PT0_PKS4_PKS3_,"axG",@progbits,_ZN9rocsparseL25kernel_set_permuted_arrayILj512E21rocsparse_complex_numIdEiEEvT1_PT0_PKS4_PKS3_,comdat
	.globl	_ZN9rocsparseL25kernel_set_permuted_arrayILj512E21rocsparse_complex_numIdEiEEvT1_PT0_PKS4_PKS3_ ; -- Begin function _ZN9rocsparseL25kernel_set_permuted_arrayILj512E21rocsparse_complex_numIdEiEEvT1_PT0_PKS4_PKS3_
	.p2align	8
	.type	_ZN9rocsparseL25kernel_set_permuted_arrayILj512E21rocsparse_complex_numIdEiEEvT1_PT0_PKS4_PKS3_,@function
_ZN9rocsparseL25kernel_set_permuted_arrayILj512E21rocsparse_complex_numIdEiEEvT1_PT0_PKS4_PKS3_: ; @_ZN9rocsparseL25kernel_set_permuted_arrayILj512E21rocsparse_complex_numIdEiEEvT1_PT0_PKS4_PKS3_
; %bb.0:
	s_load_dword s0, s[4:5], 0x2c
	s_load_dword s1, s[4:5], 0x0
	s_waitcnt lgkmcnt(0)
	s_and_b32 s0, s0, 0xffff
	s_mul_i32 s6, s6, s0
	v_add_u32_e32 v0, s6, v0
	v_cmp_gt_i32_e32 vcc, s1, v0
	s_and_saveexec_b64 s[0:1], vcc
	s_cbranch_execz .LBB38_2
; %bb.1:
	s_load_dwordx2 s[6:7], s[4:5], 0x18
	s_load_dwordx4 s[0:3], s[4:5], 0x8
	v_ashrrev_i32_e32 v1, 31, v0
	v_lshlrev_b64 v[2:3], 2, v[0:1]
	v_lshlrev_b64 v[0:1], 4, v[0:1]
	s_waitcnt lgkmcnt(0)
	v_mov_b32_e32 v4, s7
	v_add_co_u32_e32 v2, vcc, s6, v2
	v_addc_co_u32_e32 v3, vcc, v4, v3, vcc
	global_load_dword v4, v[2:3], off
	v_mov_b32_e32 v2, s3
	v_add_co_u32_e32 v0, vcc, s2, v0
	v_addc_co_u32_e32 v1, vcc, v2, v1, vcc
	global_load_dwordx4 v[0:3], v[0:1], off
	v_mov_b32_e32 v6, s1
	s_waitcnt vmcnt(1)
	v_ashrrev_i32_e32 v5, 31, v4
	v_lshlrev_b64 v[4:5], 4, v[4:5]
	v_add_co_u32_e32 v4, vcc, s0, v4
	v_addc_co_u32_e32 v5, vcc, v6, v5, vcc
	s_waitcnt vmcnt(0)
	global_store_dwordx4 v[4:5], v[0:3], off
.LBB38_2:
	s_endpgm
	.section	.rodata,"a",@progbits
	.p2align	6, 0x0
	.amdhsa_kernel _ZN9rocsparseL25kernel_set_permuted_arrayILj512E21rocsparse_complex_numIdEiEEvT1_PT0_PKS4_PKS3_
		.amdhsa_group_segment_fixed_size 0
		.amdhsa_private_segment_fixed_size 0
		.amdhsa_kernarg_size 288
		.amdhsa_user_sgpr_count 6
		.amdhsa_user_sgpr_private_segment_buffer 1
		.amdhsa_user_sgpr_dispatch_ptr 0
		.amdhsa_user_sgpr_queue_ptr 0
		.amdhsa_user_sgpr_kernarg_segment_ptr 1
		.amdhsa_user_sgpr_dispatch_id 0
		.amdhsa_user_sgpr_flat_scratch_init 0
		.amdhsa_user_sgpr_kernarg_preload_length 0
		.amdhsa_user_sgpr_kernarg_preload_offset 0
		.amdhsa_user_sgpr_private_segment_size 0
		.amdhsa_uses_dynamic_stack 0
		.amdhsa_system_sgpr_private_segment_wavefront_offset 0
		.amdhsa_system_sgpr_workgroup_id_x 1
		.amdhsa_system_sgpr_workgroup_id_y 0
		.amdhsa_system_sgpr_workgroup_id_z 0
		.amdhsa_system_sgpr_workgroup_info 0
		.amdhsa_system_vgpr_workitem_id 0
		.amdhsa_next_free_vgpr 7
		.amdhsa_next_free_sgpr 8
		.amdhsa_accum_offset 8
		.amdhsa_reserve_vcc 1
		.amdhsa_reserve_flat_scratch 0
		.amdhsa_float_round_mode_32 0
		.amdhsa_float_round_mode_16_64 0
		.amdhsa_float_denorm_mode_32 3
		.amdhsa_float_denorm_mode_16_64 3
		.amdhsa_dx10_clamp 1
		.amdhsa_ieee_mode 1
		.amdhsa_fp16_overflow 0
		.amdhsa_tg_split 0
		.amdhsa_exception_fp_ieee_invalid_op 0
		.amdhsa_exception_fp_denorm_src 0
		.amdhsa_exception_fp_ieee_div_zero 0
		.amdhsa_exception_fp_ieee_overflow 0
		.amdhsa_exception_fp_ieee_underflow 0
		.amdhsa_exception_fp_ieee_inexact 0
		.amdhsa_exception_int_div_zero 0
	.end_amdhsa_kernel
	.section	.text._ZN9rocsparseL25kernel_set_permuted_arrayILj512E21rocsparse_complex_numIdEiEEvT1_PT0_PKS4_PKS3_,"axG",@progbits,_ZN9rocsparseL25kernel_set_permuted_arrayILj512E21rocsparse_complex_numIdEiEEvT1_PT0_PKS4_PKS3_,comdat
.Lfunc_end38:
	.size	_ZN9rocsparseL25kernel_set_permuted_arrayILj512E21rocsparse_complex_numIdEiEEvT1_PT0_PKS4_PKS3_, .Lfunc_end38-_ZN9rocsparseL25kernel_set_permuted_arrayILj512E21rocsparse_complex_numIdEiEEvT1_PT0_PKS4_PKS3_
                                        ; -- End function
	.section	.AMDGPU.csdata,"",@progbits
; Kernel info:
; codeLenInByte = 172
; NumSgprs: 12
; NumVgprs: 7
; NumAgprs: 0
; TotalNumVgprs: 7
; ScratchSize: 0
; MemoryBound: 0
; FloatMode: 240
; IeeeMode: 1
; LDSByteSize: 0 bytes/workgroup (compile time only)
; SGPRBlocks: 1
; VGPRBlocks: 0
; NumSGPRsForWavesPerEU: 12
; NumVGPRsForWavesPerEU: 7
; AccumOffset: 8
; Occupancy: 8
; WaveLimiterHint : 1
; COMPUTE_PGM_RSRC2:SCRATCH_EN: 0
; COMPUTE_PGM_RSRC2:USER_SGPR: 6
; COMPUTE_PGM_RSRC2:TRAP_HANDLER: 0
; COMPUTE_PGM_RSRC2:TGID_X_EN: 1
; COMPUTE_PGM_RSRC2:TGID_Y_EN: 0
; COMPUTE_PGM_RSRC2:TGID_Z_EN: 0
; COMPUTE_PGM_RSRC2:TIDIG_COMP_CNT: 0
; COMPUTE_PGM_RSRC3_GFX90A:ACCUM_OFFSET: 1
; COMPUTE_PGM_RSRC3_GFX90A:TG_SPLIT: 0
	.section	.text._ZN9rocsparseL25kernel_set_identity_arrayILj1024EllEEvT1_PT0_,"axG",@progbits,_ZN9rocsparseL25kernel_set_identity_arrayILj1024EllEEvT1_PT0_,comdat
	.globl	_ZN9rocsparseL25kernel_set_identity_arrayILj1024EllEEvT1_PT0_ ; -- Begin function _ZN9rocsparseL25kernel_set_identity_arrayILj1024EllEEvT1_PT0_
	.p2align	8
	.type	_ZN9rocsparseL25kernel_set_identity_arrayILj1024EllEEvT1_PT0_,@function
_ZN9rocsparseL25kernel_set_identity_arrayILj1024EllEEvT1_PT0_: ; @_ZN9rocsparseL25kernel_set_identity_arrayILj1024EllEEvT1_PT0_
; %bb.0:
	s_load_dword s7, s[4:5], 0x1c
	s_load_dwordx4 s[0:3], s[4:5], 0x0
	v_mov_b32_e32 v1, 0
	s_waitcnt lgkmcnt(0)
	s_and_b32 s4, s7, 0xffff
	s_mul_i32 s6, s6, s4
	v_add_u32_e32 v0, s6, v0
	v_cmp_gt_i64_e32 vcc, s[0:1], v[0:1]
	s_and_saveexec_b64 s[0:1], vcc
	s_cbranch_execz .LBB39_2
; %bb.1:
	v_lshlrev_b64 v[2:3], 3, v[0:1]
	v_mov_b32_e32 v0, s3
	v_add_co_u32_e32 v2, vcc, s2, v2
	v_addc_co_u32_e32 v3, vcc, v0, v3, vcc
	v_mov_b32_e32 v0, 1
	global_store_dwordx2 v[2:3], v[0:1], off
.LBB39_2:
	s_endpgm
	.section	.rodata,"a",@progbits
	.p2align	6, 0x0
	.amdhsa_kernel _ZN9rocsparseL25kernel_set_identity_arrayILj1024EllEEvT1_PT0_
		.amdhsa_group_segment_fixed_size 0
		.amdhsa_private_segment_fixed_size 0
		.amdhsa_kernarg_size 272
		.amdhsa_user_sgpr_count 6
		.amdhsa_user_sgpr_private_segment_buffer 1
		.amdhsa_user_sgpr_dispatch_ptr 0
		.amdhsa_user_sgpr_queue_ptr 0
		.amdhsa_user_sgpr_kernarg_segment_ptr 1
		.amdhsa_user_sgpr_dispatch_id 0
		.amdhsa_user_sgpr_flat_scratch_init 0
		.amdhsa_user_sgpr_kernarg_preload_length 0
		.amdhsa_user_sgpr_kernarg_preload_offset 0
		.amdhsa_user_sgpr_private_segment_size 0
		.amdhsa_uses_dynamic_stack 0
		.amdhsa_system_sgpr_private_segment_wavefront_offset 0
		.amdhsa_system_sgpr_workgroup_id_x 1
		.amdhsa_system_sgpr_workgroup_id_y 0
		.amdhsa_system_sgpr_workgroup_id_z 0
		.amdhsa_system_sgpr_workgroup_info 0
		.amdhsa_system_vgpr_workitem_id 0
		.amdhsa_next_free_vgpr 4
		.amdhsa_next_free_sgpr 8
		.amdhsa_accum_offset 4
		.amdhsa_reserve_vcc 1
		.amdhsa_reserve_flat_scratch 0
		.amdhsa_float_round_mode_32 0
		.amdhsa_float_round_mode_16_64 0
		.amdhsa_float_denorm_mode_32 3
		.amdhsa_float_denorm_mode_16_64 3
		.amdhsa_dx10_clamp 1
		.amdhsa_ieee_mode 1
		.amdhsa_fp16_overflow 0
		.amdhsa_tg_split 0
		.amdhsa_exception_fp_ieee_invalid_op 0
		.amdhsa_exception_fp_denorm_src 0
		.amdhsa_exception_fp_ieee_div_zero 0
		.amdhsa_exception_fp_ieee_overflow 0
		.amdhsa_exception_fp_ieee_underflow 0
		.amdhsa_exception_fp_ieee_inexact 0
		.amdhsa_exception_int_div_zero 0
	.end_amdhsa_kernel
	.section	.text._ZN9rocsparseL25kernel_set_identity_arrayILj1024EllEEvT1_PT0_,"axG",@progbits,_ZN9rocsparseL25kernel_set_identity_arrayILj1024EllEEvT1_PT0_,comdat
.Lfunc_end39:
	.size	_ZN9rocsparseL25kernel_set_identity_arrayILj1024EllEEvT1_PT0_, .Lfunc_end39-_ZN9rocsparseL25kernel_set_identity_arrayILj1024EllEEvT1_PT0_
                                        ; -- End function
	.section	.AMDGPU.csdata,"",@progbits
; Kernel info:
; codeLenInByte = 88
; NumSgprs: 12
; NumVgprs: 4
; NumAgprs: 0
; TotalNumVgprs: 4
; ScratchSize: 0
; MemoryBound: 0
; FloatMode: 240
; IeeeMode: 1
; LDSByteSize: 0 bytes/workgroup (compile time only)
; SGPRBlocks: 1
; VGPRBlocks: 0
; NumSGPRsForWavesPerEU: 12
; NumVGPRsForWavesPerEU: 4
; AccumOffset: 4
; Occupancy: 8
; WaveLimiterHint : 0
; COMPUTE_PGM_RSRC2:SCRATCH_EN: 0
; COMPUTE_PGM_RSRC2:USER_SGPR: 6
; COMPUTE_PGM_RSRC2:TRAP_HANDLER: 0
; COMPUTE_PGM_RSRC2:TGID_X_EN: 1
; COMPUTE_PGM_RSRC2:TGID_Y_EN: 0
; COMPUTE_PGM_RSRC2:TGID_Z_EN: 0
; COMPUTE_PGM_RSRC2:TIDIG_COMP_CNT: 0
; COMPUTE_PGM_RSRC3_GFX90A:ACCUM_OFFSET: 0
; COMPUTE_PGM_RSRC3_GFX90A:TG_SPLIT: 0
	.section	.text._ZN9rocsparseL25kernel_get_permuted_arrayILj1024EllEEvT1_PKT0_PS2_PKS1_,"axG",@progbits,_ZN9rocsparseL25kernel_get_permuted_arrayILj1024EllEEvT1_PKT0_PS2_PKS1_,comdat
	.globl	_ZN9rocsparseL25kernel_get_permuted_arrayILj1024EllEEvT1_PKT0_PS2_PKS1_ ; -- Begin function _ZN9rocsparseL25kernel_get_permuted_arrayILj1024EllEEvT1_PKT0_PS2_PKS1_
	.p2align	8
	.type	_ZN9rocsparseL25kernel_get_permuted_arrayILj1024EllEEvT1_PKT0_PS2_PKS1_,@function
_ZN9rocsparseL25kernel_get_permuted_arrayILj1024EllEEvT1_PKT0_PS2_PKS1_: ; @_ZN9rocsparseL25kernel_get_permuted_arrayILj1024EllEEvT1_PKT0_PS2_PKS1_
; %bb.0:
	s_load_dword s0, s[4:5], 0x2c
	s_load_dwordx8 s[8:15], s[4:5], 0x0
	v_mov_b32_e32 v1, 0
	s_waitcnt lgkmcnt(0)
	s_and_b32 s0, s0, 0xffff
	s_mul_i32 s6, s6, s0
	v_add_u32_e32 v0, s6, v0
	v_cmp_gt_i64_e32 vcc, s[8:9], v[0:1]
	s_and_saveexec_b64 s[0:1], vcc
	s_cbranch_execz .LBB40_2
; %bb.1:
	v_lshlrev_b64 v[0:1], 3, v[0:1]
	v_mov_b32_e32 v3, s15
	v_add_co_u32_e32 v2, vcc, s14, v0
	v_addc_co_u32_e32 v3, vcc, v3, v1, vcc
	global_load_dwordx2 v[2:3], v[2:3], off
	v_mov_b32_e32 v4, s11
	s_waitcnt vmcnt(0)
	v_lshlrev_b64 v[2:3], 3, v[2:3]
	v_add_co_u32_e32 v2, vcc, s10, v2
	v_addc_co_u32_e32 v3, vcc, v4, v3, vcc
	global_load_dwordx2 v[2:3], v[2:3], off
	v_mov_b32_e32 v4, s13
	v_add_co_u32_e32 v0, vcc, s12, v0
	v_addc_co_u32_e32 v1, vcc, v4, v1, vcc
	s_waitcnt vmcnt(0)
	global_store_dwordx2 v[0:1], v[2:3], off
.LBB40_2:
	s_endpgm
	.section	.rodata,"a",@progbits
	.p2align	6, 0x0
	.amdhsa_kernel _ZN9rocsparseL25kernel_get_permuted_arrayILj1024EllEEvT1_PKT0_PS2_PKS1_
		.amdhsa_group_segment_fixed_size 0
		.amdhsa_private_segment_fixed_size 0
		.amdhsa_kernarg_size 288
		.amdhsa_user_sgpr_count 6
		.amdhsa_user_sgpr_private_segment_buffer 1
		.amdhsa_user_sgpr_dispatch_ptr 0
		.amdhsa_user_sgpr_queue_ptr 0
		.amdhsa_user_sgpr_kernarg_segment_ptr 1
		.amdhsa_user_sgpr_dispatch_id 0
		.amdhsa_user_sgpr_flat_scratch_init 0
		.amdhsa_user_sgpr_kernarg_preload_length 0
		.amdhsa_user_sgpr_kernarg_preload_offset 0
		.amdhsa_user_sgpr_private_segment_size 0
		.amdhsa_uses_dynamic_stack 0
		.amdhsa_system_sgpr_private_segment_wavefront_offset 0
		.amdhsa_system_sgpr_workgroup_id_x 1
		.amdhsa_system_sgpr_workgroup_id_y 0
		.amdhsa_system_sgpr_workgroup_id_z 0
		.amdhsa_system_sgpr_workgroup_info 0
		.amdhsa_system_vgpr_workitem_id 0
		.amdhsa_next_free_vgpr 5
		.amdhsa_next_free_sgpr 16
		.amdhsa_accum_offset 8
		.amdhsa_reserve_vcc 1
		.amdhsa_reserve_flat_scratch 0
		.amdhsa_float_round_mode_32 0
		.amdhsa_float_round_mode_16_64 0
		.amdhsa_float_denorm_mode_32 3
		.amdhsa_float_denorm_mode_16_64 3
		.amdhsa_dx10_clamp 1
		.amdhsa_ieee_mode 1
		.amdhsa_fp16_overflow 0
		.amdhsa_tg_split 0
		.amdhsa_exception_fp_ieee_invalid_op 0
		.amdhsa_exception_fp_denorm_src 0
		.amdhsa_exception_fp_ieee_div_zero 0
		.amdhsa_exception_fp_ieee_overflow 0
		.amdhsa_exception_fp_ieee_underflow 0
		.amdhsa_exception_fp_ieee_inexact 0
		.amdhsa_exception_int_div_zero 0
	.end_amdhsa_kernel
	.section	.text._ZN9rocsparseL25kernel_get_permuted_arrayILj1024EllEEvT1_PKT0_PS2_PKS1_,"axG",@progbits,_ZN9rocsparseL25kernel_get_permuted_arrayILj1024EllEEvT1_PKT0_PS2_PKS1_,comdat
.Lfunc_end40:
	.size	_ZN9rocsparseL25kernel_get_permuted_arrayILj1024EllEEvT1_PKT0_PS2_PKS1_, .Lfunc_end40-_ZN9rocsparseL25kernel_get_permuted_arrayILj1024EllEEvT1_PKT0_PS2_PKS1_
                                        ; -- End function
	.section	.AMDGPU.csdata,"",@progbits
; Kernel info:
; codeLenInByte = 140
; NumSgprs: 20
; NumVgprs: 5
; NumAgprs: 0
; TotalNumVgprs: 5
; ScratchSize: 0
; MemoryBound: 0
; FloatMode: 240
; IeeeMode: 1
; LDSByteSize: 0 bytes/workgroup (compile time only)
; SGPRBlocks: 2
; VGPRBlocks: 0
; NumSGPRsForWavesPerEU: 20
; NumVGPRsForWavesPerEU: 5
; AccumOffset: 8
; Occupancy: 8
; WaveLimiterHint : 1
; COMPUTE_PGM_RSRC2:SCRATCH_EN: 0
; COMPUTE_PGM_RSRC2:USER_SGPR: 6
; COMPUTE_PGM_RSRC2:TRAP_HANDLER: 0
; COMPUTE_PGM_RSRC2:TGID_X_EN: 1
; COMPUTE_PGM_RSRC2:TGID_Y_EN: 0
; COMPUTE_PGM_RSRC2:TGID_Z_EN: 0
; COMPUTE_PGM_RSRC2:TIDIG_COMP_CNT: 0
; COMPUTE_PGM_RSRC3_GFX90A:ACCUM_OFFSET: 1
; COMPUTE_PGM_RSRC3_GFX90A:TG_SPLIT: 0
	.section	.text._ZN9rocsparseL25kernel_set_permuted_arrayILj1024EllEEvT1_PT0_PKS2_PKS1_,"axG",@progbits,_ZN9rocsparseL25kernel_set_permuted_arrayILj1024EllEEvT1_PT0_PKS2_PKS1_,comdat
	.globl	_ZN9rocsparseL25kernel_set_permuted_arrayILj1024EllEEvT1_PT0_PKS2_PKS1_ ; -- Begin function _ZN9rocsparseL25kernel_set_permuted_arrayILj1024EllEEvT1_PT0_PKS2_PKS1_
	.p2align	8
	.type	_ZN9rocsparseL25kernel_set_permuted_arrayILj1024EllEEvT1_PT0_PKS2_PKS1_,@function
_ZN9rocsparseL25kernel_set_permuted_arrayILj1024EllEEvT1_PT0_PKS2_PKS1_: ; @_ZN9rocsparseL25kernel_set_permuted_arrayILj1024EllEEvT1_PT0_PKS2_PKS1_
; %bb.0:
	s_load_dword s0, s[4:5], 0x2c
	s_load_dwordx8 s[8:15], s[4:5], 0x0
	v_mov_b32_e32 v1, 0
	s_waitcnt lgkmcnt(0)
	s_and_b32 s0, s0, 0xffff
	s_mul_i32 s6, s6, s0
	v_add_u32_e32 v0, s6, v0
	v_cmp_gt_i64_e32 vcc, s[8:9], v[0:1]
	s_and_saveexec_b64 s[0:1], vcc
	s_cbranch_execz .LBB41_2
; %bb.1:
	v_lshlrev_b64 v[0:1], 3, v[0:1]
	v_mov_b32_e32 v3, s15
	v_add_co_u32_e32 v2, vcc, s14, v0
	v_addc_co_u32_e32 v3, vcc, v3, v1, vcc
	global_load_dwordx2 v[2:3], v[2:3], off
	v_mov_b32_e32 v4, s13
	v_add_co_u32_e32 v0, vcc, s12, v0
	v_addc_co_u32_e32 v1, vcc, v4, v1, vcc
	global_load_dwordx2 v[0:1], v[0:1], off
	v_mov_b32_e32 v4, s11
	s_waitcnt vmcnt(1)
	v_lshlrev_b64 v[2:3], 3, v[2:3]
	v_add_co_u32_e32 v2, vcc, s10, v2
	v_addc_co_u32_e32 v3, vcc, v4, v3, vcc
	s_waitcnt vmcnt(0)
	global_store_dwordx2 v[2:3], v[0:1], off
.LBB41_2:
	s_endpgm
	.section	.rodata,"a",@progbits
	.p2align	6, 0x0
	.amdhsa_kernel _ZN9rocsparseL25kernel_set_permuted_arrayILj1024EllEEvT1_PT0_PKS2_PKS1_
		.amdhsa_group_segment_fixed_size 0
		.amdhsa_private_segment_fixed_size 0
		.amdhsa_kernarg_size 288
		.amdhsa_user_sgpr_count 6
		.amdhsa_user_sgpr_private_segment_buffer 1
		.amdhsa_user_sgpr_dispatch_ptr 0
		.amdhsa_user_sgpr_queue_ptr 0
		.amdhsa_user_sgpr_kernarg_segment_ptr 1
		.amdhsa_user_sgpr_dispatch_id 0
		.amdhsa_user_sgpr_flat_scratch_init 0
		.amdhsa_user_sgpr_kernarg_preload_length 0
		.amdhsa_user_sgpr_kernarg_preload_offset 0
		.amdhsa_user_sgpr_private_segment_size 0
		.amdhsa_uses_dynamic_stack 0
		.amdhsa_system_sgpr_private_segment_wavefront_offset 0
		.amdhsa_system_sgpr_workgroup_id_x 1
		.amdhsa_system_sgpr_workgroup_id_y 0
		.amdhsa_system_sgpr_workgroup_id_z 0
		.amdhsa_system_sgpr_workgroup_info 0
		.amdhsa_system_vgpr_workitem_id 0
		.amdhsa_next_free_vgpr 5
		.amdhsa_next_free_sgpr 16
		.amdhsa_accum_offset 8
		.amdhsa_reserve_vcc 1
		.amdhsa_reserve_flat_scratch 0
		.amdhsa_float_round_mode_32 0
		.amdhsa_float_round_mode_16_64 0
		.amdhsa_float_denorm_mode_32 3
		.amdhsa_float_denorm_mode_16_64 3
		.amdhsa_dx10_clamp 1
		.amdhsa_ieee_mode 1
		.amdhsa_fp16_overflow 0
		.amdhsa_tg_split 0
		.amdhsa_exception_fp_ieee_invalid_op 0
		.amdhsa_exception_fp_denorm_src 0
		.amdhsa_exception_fp_ieee_div_zero 0
		.amdhsa_exception_fp_ieee_overflow 0
		.amdhsa_exception_fp_ieee_underflow 0
		.amdhsa_exception_fp_ieee_inexact 0
		.amdhsa_exception_int_div_zero 0
	.end_amdhsa_kernel
	.section	.text._ZN9rocsparseL25kernel_set_permuted_arrayILj1024EllEEvT1_PT0_PKS2_PKS1_,"axG",@progbits,_ZN9rocsparseL25kernel_set_permuted_arrayILj1024EllEEvT1_PT0_PKS2_PKS1_,comdat
.Lfunc_end41:
	.size	_ZN9rocsparseL25kernel_set_permuted_arrayILj1024EllEEvT1_PT0_PKS2_PKS1_, .Lfunc_end41-_ZN9rocsparseL25kernel_set_permuted_arrayILj1024EllEEvT1_PT0_PKS2_PKS1_
                                        ; -- End function
	.section	.AMDGPU.csdata,"",@progbits
; Kernel info:
; codeLenInByte = 140
; NumSgprs: 20
; NumVgprs: 5
; NumAgprs: 0
; TotalNumVgprs: 5
; ScratchSize: 0
; MemoryBound: 0
; FloatMode: 240
; IeeeMode: 1
; LDSByteSize: 0 bytes/workgroup (compile time only)
; SGPRBlocks: 2
; VGPRBlocks: 0
; NumSGPRsForWavesPerEU: 20
; NumVGPRsForWavesPerEU: 5
; AccumOffset: 8
; Occupancy: 8
; WaveLimiterHint : 1
; COMPUTE_PGM_RSRC2:SCRATCH_EN: 0
; COMPUTE_PGM_RSRC2:USER_SGPR: 6
; COMPUTE_PGM_RSRC2:TRAP_HANDLER: 0
; COMPUTE_PGM_RSRC2:TGID_X_EN: 1
; COMPUTE_PGM_RSRC2:TGID_Y_EN: 0
; COMPUTE_PGM_RSRC2:TGID_Z_EN: 0
; COMPUTE_PGM_RSRC2:TIDIG_COMP_CNT: 0
; COMPUTE_PGM_RSRC3_GFX90A:ACCUM_OFFSET: 1
; COMPUTE_PGM_RSRC3_GFX90A:TG_SPLIT: 0
	.section	.text._ZN9rocsparseL25kernel_set_identity_arrayILj1024EflEEvT1_PT0_,"axG",@progbits,_ZN9rocsparseL25kernel_set_identity_arrayILj1024EflEEvT1_PT0_,comdat
	.globl	_ZN9rocsparseL25kernel_set_identity_arrayILj1024EflEEvT1_PT0_ ; -- Begin function _ZN9rocsparseL25kernel_set_identity_arrayILj1024EflEEvT1_PT0_
	.p2align	8
	.type	_ZN9rocsparseL25kernel_set_identity_arrayILj1024EflEEvT1_PT0_,@function
_ZN9rocsparseL25kernel_set_identity_arrayILj1024EflEEvT1_PT0_: ; @_ZN9rocsparseL25kernel_set_identity_arrayILj1024EflEEvT1_PT0_
; %bb.0:
	s_load_dword s7, s[4:5], 0x1c
	s_load_dwordx4 s[0:3], s[4:5], 0x0
	v_mov_b32_e32 v1, 0
	s_waitcnt lgkmcnt(0)
	s_and_b32 s4, s7, 0xffff
	s_mul_i32 s6, s6, s4
	v_add_u32_e32 v0, s6, v0
	v_cmp_gt_i64_e32 vcc, s[0:1], v[0:1]
	s_and_saveexec_b64 s[0:1], vcc
	s_cbranch_execz .LBB42_2
; %bb.1:
	v_lshlrev_b64 v[0:1], 2, v[0:1]
	v_mov_b32_e32 v2, s3
	v_add_co_u32_e32 v0, vcc, s2, v0
	v_addc_co_u32_e32 v1, vcc, v2, v1, vcc
	v_mov_b32_e32 v2, 1.0
	global_store_dword v[0:1], v2, off
.LBB42_2:
	s_endpgm
	.section	.rodata,"a",@progbits
	.p2align	6, 0x0
	.amdhsa_kernel _ZN9rocsparseL25kernel_set_identity_arrayILj1024EflEEvT1_PT0_
		.amdhsa_group_segment_fixed_size 0
		.amdhsa_private_segment_fixed_size 0
		.amdhsa_kernarg_size 272
		.amdhsa_user_sgpr_count 6
		.amdhsa_user_sgpr_private_segment_buffer 1
		.amdhsa_user_sgpr_dispatch_ptr 0
		.amdhsa_user_sgpr_queue_ptr 0
		.amdhsa_user_sgpr_kernarg_segment_ptr 1
		.amdhsa_user_sgpr_dispatch_id 0
		.amdhsa_user_sgpr_flat_scratch_init 0
		.amdhsa_user_sgpr_kernarg_preload_length 0
		.amdhsa_user_sgpr_kernarg_preload_offset 0
		.amdhsa_user_sgpr_private_segment_size 0
		.amdhsa_uses_dynamic_stack 0
		.amdhsa_system_sgpr_private_segment_wavefront_offset 0
		.amdhsa_system_sgpr_workgroup_id_x 1
		.amdhsa_system_sgpr_workgroup_id_y 0
		.amdhsa_system_sgpr_workgroup_id_z 0
		.amdhsa_system_sgpr_workgroup_info 0
		.amdhsa_system_vgpr_workitem_id 0
		.amdhsa_next_free_vgpr 3
		.amdhsa_next_free_sgpr 8
		.amdhsa_accum_offset 4
		.amdhsa_reserve_vcc 1
		.amdhsa_reserve_flat_scratch 0
		.amdhsa_float_round_mode_32 0
		.amdhsa_float_round_mode_16_64 0
		.amdhsa_float_denorm_mode_32 3
		.amdhsa_float_denorm_mode_16_64 3
		.amdhsa_dx10_clamp 1
		.amdhsa_ieee_mode 1
		.amdhsa_fp16_overflow 0
		.amdhsa_tg_split 0
		.amdhsa_exception_fp_ieee_invalid_op 0
		.amdhsa_exception_fp_denorm_src 0
		.amdhsa_exception_fp_ieee_div_zero 0
		.amdhsa_exception_fp_ieee_overflow 0
		.amdhsa_exception_fp_ieee_underflow 0
		.amdhsa_exception_fp_ieee_inexact 0
		.amdhsa_exception_int_div_zero 0
	.end_amdhsa_kernel
	.section	.text._ZN9rocsparseL25kernel_set_identity_arrayILj1024EflEEvT1_PT0_,"axG",@progbits,_ZN9rocsparseL25kernel_set_identity_arrayILj1024EflEEvT1_PT0_,comdat
.Lfunc_end42:
	.size	_ZN9rocsparseL25kernel_set_identity_arrayILj1024EflEEvT1_PT0_, .Lfunc_end42-_ZN9rocsparseL25kernel_set_identity_arrayILj1024EflEEvT1_PT0_
                                        ; -- End function
	.section	.AMDGPU.csdata,"",@progbits
; Kernel info:
; codeLenInByte = 88
; NumSgprs: 12
; NumVgprs: 3
; NumAgprs: 0
; TotalNumVgprs: 3
; ScratchSize: 0
; MemoryBound: 0
; FloatMode: 240
; IeeeMode: 1
; LDSByteSize: 0 bytes/workgroup (compile time only)
; SGPRBlocks: 1
; VGPRBlocks: 0
; NumSGPRsForWavesPerEU: 12
; NumVGPRsForWavesPerEU: 3
; AccumOffset: 4
; Occupancy: 8
; WaveLimiterHint : 0
; COMPUTE_PGM_RSRC2:SCRATCH_EN: 0
; COMPUTE_PGM_RSRC2:USER_SGPR: 6
; COMPUTE_PGM_RSRC2:TRAP_HANDLER: 0
; COMPUTE_PGM_RSRC2:TGID_X_EN: 1
; COMPUTE_PGM_RSRC2:TGID_Y_EN: 0
; COMPUTE_PGM_RSRC2:TGID_Z_EN: 0
; COMPUTE_PGM_RSRC2:TIDIG_COMP_CNT: 0
; COMPUTE_PGM_RSRC3_GFX90A:ACCUM_OFFSET: 0
; COMPUTE_PGM_RSRC3_GFX90A:TG_SPLIT: 0
	.section	.text._ZN9rocsparseL25kernel_get_permuted_arrayILj1024EflEEvT1_PKT0_PS2_PKS1_,"axG",@progbits,_ZN9rocsparseL25kernel_get_permuted_arrayILj1024EflEEvT1_PKT0_PS2_PKS1_,comdat
	.globl	_ZN9rocsparseL25kernel_get_permuted_arrayILj1024EflEEvT1_PKT0_PS2_PKS1_ ; -- Begin function _ZN9rocsparseL25kernel_get_permuted_arrayILj1024EflEEvT1_PKT0_PS2_PKS1_
	.p2align	8
	.type	_ZN9rocsparseL25kernel_get_permuted_arrayILj1024EflEEvT1_PKT0_PS2_PKS1_,@function
_ZN9rocsparseL25kernel_get_permuted_arrayILj1024EflEEvT1_PKT0_PS2_PKS1_: ; @_ZN9rocsparseL25kernel_get_permuted_arrayILj1024EflEEvT1_PKT0_PS2_PKS1_
; %bb.0:
	s_load_dword s0, s[4:5], 0x2c
	s_load_dwordx8 s[8:15], s[4:5], 0x0
	v_mov_b32_e32 v1, 0
	s_waitcnt lgkmcnt(0)
	s_and_b32 s0, s0, 0xffff
	s_mul_i32 s6, s6, s0
	v_add_u32_e32 v0, s6, v0
	v_cmp_gt_i64_e32 vcc, s[8:9], v[0:1]
	s_and_saveexec_b64 s[0:1], vcc
	s_cbranch_execz .LBB43_2
; %bb.1:
	v_lshlrev_b64 v[2:3], 3, v[0:1]
	v_mov_b32_e32 v4, s15
	v_add_co_u32_e32 v2, vcc, s14, v2
	v_addc_co_u32_e32 v3, vcc, v4, v3, vcc
	global_load_dwordx2 v[2:3], v[2:3], off
	v_mov_b32_e32 v4, s11
	v_lshlrev_b64 v[0:1], 2, v[0:1]
	s_waitcnt vmcnt(0)
	v_lshlrev_b64 v[2:3], 2, v[2:3]
	v_add_co_u32_e32 v2, vcc, s10, v2
	v_addc_co_u32_e32 v3, vcc, v4, v3, vcc
	global_load_dword v2, v[2:3], off
	v_mov_b32_e32 v3, s13
	v_add_co_u32_e32 v0, vcc, s12, v0
	v_addc_co_u32_e32 v1, vcc, v3, v1, vcc
	s_waitcnt vmcnt(0)
	global_store_dword v[0:1], v2, off
.LBB43_2:
	s_endpgm
	.section	.rodata,"a",@progbits
	.p2align	6, 0x0
	.amdhsa_kernel _ZN9rocsparseL25kernel_get_permuted_arrayILj1024EflEEvT1_PKT0_PS2_PKS1_
		.amdhsa_group_segment_fixed_size 0
		.amdhsa_private_segment_fixed_size 0
		.amdhsa_kernarg_size 288
		.amdhsa_user_sgpr_count 6
		.amdhsa_user_sgpr_private_segment_buffer 1
		.amdhsa_user_sgpr_dispatch_ptr 0
		.amdhsa_user_sgpr_queue_ptr 0
		.amdhsa_user_sgpr_kernarg_segment_ptr 1
		.amdhsa_user_sgpr_dispatch_id 0
		.amdhsa_user_sgpr_flat_scratch_init 0
		.amdhsa_user_sgpr_kernarg_preload_length 0
		.amdhsa_user_sgpr_kernarg_preload_offset 0
		.amdhsa_user_sgpr_private_segment_size 0
		.amdhsa_uses_dynamic_stack 0
		.amdhsa_system_sgpr_private_segment_wavefront_offset 0
		.amdhsa_system_sgpr_workgroup_id_x 1
		.amdhsa_system_sgpr_workgroup_id_y 0
		.amdhsa_system_sgpr_workgroup_id_z 0
		.amdhsa_system_sgpr_workgroup_info 0
		.amdhsa_system_vgpr_workitem_id 0
		.amdhsa_next_free_vgpr 5
		.amdhsa_next_free_sgpr 16
		.amdhsa_accum_offset 8
		.amdhsa_reserve_vcc 1
		.amdhsa_reserve_flat_scratch 0
		.amdhsa_float_round_mode_32 0
		.amdhsa_float_round_mode_16_64 0
		.amdhsa_float_denorm_mode_32 3
		.amdhsa_float_denorm_mode_16_64 3
		.amdhsa_dx10_clamp 1
		.amdhsa_ieee_mode 1
		.amdhsa_fp16_overflow 0
		.amdhsa_tg_split 0
		.amdhsa_exception_fp_ieee_invalid_op 0
		.amdhsa_exception_fp_denorm_src 0
		.amdhsa_exception_fp_ieee_div_zero 0
		.amdhsa_exception_fp_ieee_overflow 0
		.amdhsa_exception_fp_ieee_underflow 0
		.amdhsa_exception_fp_ieee_inexact 0
		.amdhsa_exception_int_div_zero 0
	.end_amdhsa_kernel
	.section	.text._ZN9rocsparseL25kernel_get_permuted_arrayILj1024EflEEvT1_PKT0_PS2_PKS1_,"axG",@progbits,_ZN9rocsparseL25kernel_get_permuted_arrayILj1024EflEEvT1_PKT0_PS2_PKS1_,comdat
.Lfunc_end43:
	.size	_ZN9rocsparseL25kernel_get_permuted_arrayILj1024EflEEvT1_PKT0_PS2_PKS1_, .Lfunc_end43-_ZN9rocsparseL25kernel_get_permuted_arrayILj1024EflEEvT1_PKT0_PS2_PKS1_
                                        ; -- End function
	.section	.AMDGPU.csdata,"",@progbits
; Kernel info:
; codeLenInByte = 148
; NumSgprs: 20
; NumVgprs: 5
; NumAgprs: 0
; TotalNumVgprs: 5
; ScratchSize: 0
; MemoryBound: 0
; FloatMode: 240
; IeeeMode: 1
; LDSByteSize: 0 bytes/workgroup (compile time only)
; SGPRBlocks: 2
; VGPRBlocks: 0
; NumSGPRsForWavesPerEU: 20
; NumVGPRsForWavesPerEU: 5
; AccumOffset: 8
; Occupancy: 8
; WaveLimiterHint : 1
; COMPUTE_PGM_RSRC2:SCRATCH_EN: 0
; COMPUTE_PGM_RSRC2:USER_SGPR: 6
; COMPUTE_PGM_RSRC2:TRAP_HANDLER: 0
; COMPUTE_PGM_RSRC2:TGID_X_EN: 1
; COMPUTE_PGM_RSRC2:TGID_Y_EN: 0
; COMPUTE_PGM_RSRC2:TGID_Z_EN: 0
; COMPUTE_PGM_RSRC2:TIDIG_COMP_CNT: 0
; COMPUTE_PGM_RSRC3_GFX90A:ACCUM_OFFSET: 1
; COMPUTE_PGM_RSRC3_GFX90A:TG_SPLIT: 0
	.section	.text._ZN9rocsparseL25kernel_set_permuted_arrayILj1024EflEEvT1_PT0_PKS2_PKS1_,"axG",@progbits,_ZN9rocsparseL25kernel_set_permuted_arrayILj1024EflEEvT1_PT0_PKS2_PKS1_,comdat
	.globl	_ZN9rocsparseL25kernel_set_permuted_arrayILj1024EflEEvT1_PT0_PKS2_PKS1_ ; -- Begin function _ZN9rocsparseL25kernel_set_permuted_arrayILj1024EflEEvT1_PT0_PKS2_PKS1_
	.p2align	8
	.type	_ZN9rocsparseL25kernel_set_permuted_arrayILj1024EflEEvT1_PT0_PKS2_PKS1_,@function
_ZN9rocsparseL25kernel_set_permuted_arrayILj1024EflEEvT1_PT0_PKS2_PKS1_: ; @_ZN9rocsparseL25kernel_set_permuted_arrayILj1024EflEEvT1_PT0_PKS2_PKS1_
; %bb.0:
	s_load_dword s0, s[4:5], 0x2c
	s_load_dwordx8 s[8:15], s[4:5], 0x0
	v_mov_b32_e32 v1, 0
	s_waitcnt lgkmcnt(0)
	s_and_b32 s0, s0, 0xffff
	s_mul_i32 s6, s6, s0
	v_add_u32_e32 v0, s6, v0
	v_cmp_gt_i64_e32 vcc, s[8:9], v[0:1]
	s_and_saveexec_b64 s[0:1], vcc
	s_cbranch_execz .LBB44_2
; %bb.1:
	v_lshlrev_b64 v[2:3], 3, v[0:1]
	v_mov_b32_e32 v4, s15
	v_add_co_u32_e32 v2, vcc, s14, v2
	v_addc_co_u32_e32 v3, vcc, v4, v3, vcc
	v_lshlrev_b64 v[0:1], 2, v[0:1]
	global_load_dwordx2 v[2:3], v[2:3], off
	v_mov_b32_e32 v4, s13
	v_add_co_u32_e32 v0, vcc, s12, v0
	v_addc_co_u32_e32 v1, vcc, v4, v1, vcc
	global_load_dword v4, v[0:1], off
	v_mov_b32_e32 v5, s11
	s_waitcnt vmcnt(1)
	v_lshlrev_b64 v[0:1], 2, v[2:3]
	v_add_co_u32_e32 v0, vcc, s10, v0
	v_addc_co_u32_e32 v1, vcc, v5, v1, vcc
	s_waitcnt vmcnt(0)
	global_store_dword v[0:1], v4, off
.LBB44_2:
	s_endpgm
	.section	.rodata,"a",@progbits
	.p2align	6, 0x0
	.amdhsa_kernel _ZN9rocsparseL25kernel_set_permuted_arrayILj1024EflEEvT1_PT0_PKS2_PKS1_
		.amdhsa_group_segment_fixed_size 0
		.amdhsa_private_segment_fixed_size 0
		.amdhsa_kernarg_size 288
		.amdhsa_user_sgpr_count 6
		.amdhsa_user_sgpr_private_segment_buffer 1
		.amdhsa_user_sgpr_dispatch_ptr 0
		.amdhsa_user_sgpr_queue_ptr 0
		.amdhsa_user_sgpr_kernarg_segment_ptr 1
		.amdhsa_user_sgpr_dispatch_id 0
		.amdhsa_user_sgpr_flat_scratch_init 0
		.amdhsa_user_sgpr_kernarg_preload_length 0
		.amdhsa_user_sgpr_kernarg_preload_offset 0
		.amdhsa_user_sgpr_private_segment_size 0
		.amdhsa_uses_dynamic_stack 0
		.amdhsa_system_sgpr_private_segment_wavefront_offset 0
		.amdhsa_system_sgpr_workgroup_id_x 1
		.amdhsa_system_sgpr_workgroup_id_y 0
		.amdhsa_system_sgpr_workgroup_id_z 0
		.amdhsa_system_sgpr_workgroup_info 0
		.amdhsa_system_vgpr_workitem_id 0
		.amdhsa_next_free_vgpr 6
		.amdhsa_next_free_sgpr 16
		.amdhsa_accum_offset 8
		.amdhsa_reserve_vcc 1
		.amdhsa_reserve_flat_scratch 0
		.amdhsa_float_round_mode_32 0
		.amdhsa_float_round_mode_16_64 0
		.amdhsa_float_denorm_mode_32 3
		.amdhsa_float_denorm_mode_16_64 3
		.amdhsa_dx10_clamp 1
		.amdhsa_ieee_mode 1
		.amdhsa_fp16_overflow 0
		.amdhsa_tg_split 0
		.amdhsa_exception_fp_ieee_invalid_op 0
		.amdhsa_exception_fp_denorm_src 0
		.amdhsa_exception_fp_ieee_div_zero 0
		.amdhsa_exception_fp_ieee_overflow 0
		.amdhsa_exception_fp_ieee_underflow 0
		.amdhsa_exception_fp_ieee_inexact 0
		.amdhsa_exception_int_div_zero 0
	.end_amdhsa_kernel
	.section	.text._ZN9rocsparseL25kernel_set_permuted_arrayILj1024EflEEvT1_PT0_PKS2_PKS1_,"axG",@progbits,_ZN9rocsparseL25kernel_set_permuted_arrayILj1024EflEEvT1_PT0_PKS2_PKS1_,comdat
.Lfunc_end44:
	.size	_ZN9rocsparseL25kernel_set_permuted_arrayILj1024EflEEvT1_PT0_PKS2_PKS1_, .Lfunc_end44-_ZN9rocsparseL25kernel_set_permuted_arrayILj1024EflEEvT1_PT0_PKS2_PKS1_
                                        ; -- End function
	.section	.AMDGPU.csdata,"",@progbits
; Kernel info:
; codeLenInByte = 148
; NumSgprs: 20
; NumVgprs: 6
; NumAgprs: 0
; TotalNumVgprs: 6
; ScratchSize: 0
; MemoryBound: 0
; FloatMode: 240
; IeeeMode: 1
; LDSByteSize: 0 bytes/workgroup (compile time only)
; SGPRBlocks: 2
; VGPRBlocks: 0
; NumSGPRsForWavesPerEU: 20
; NumVGPRsForWavesPerEU: 6
; AccumOffset: 8
; Occupancy: 8
; WaveLimiterHint : 1
; COMPUTE_PGM_RSRC2:SCRATCH_EN: 0
; COMPUTE_PGM_RSRC2:USER_SGPR: 6
; COMPUTE_PGM_RSRC2:TRAP_HANDLER: 0
; COMPUTE_PGM_RSRC2:TGID_X_EN: 1
; COMPUTE_PGM_RSRC2:TGID_Y_EN: 0
; COMPUTE_PGM_RSRC2:TGID_Z_EN: 0
; COMPUTE_PGM_RSRC2:TIDIG_COMP_CNT: 0
; COMPUTE_PGM_RSRC3_GFX90A:ACCUM_OFFSET: 1
; COMPUTE_PGM_RSRC3_GFX90A:TG_SPLIT: 0
	.section	.text._ZN9rocsparseL25kernel_set_identity_arrayILj1024EdlEEvT1_PT0_,"axG",@progbits,_ZN9rocsparseL25kernel_set_identity_arrayILj1024EdlEEvT1_PT0_,comdat
	.globl	_ZN9rocsparseL25kernel_set_identity_arrayILj1024EdlEEvT1_PT0_ ; -- Begin function _ZN9rocsparseL25kernel_set_identity_arrayILj1024EdlEEvT1_PT0_
	.p2align	8
	.type	_ZN9rocsparseL25kernel_set_identity_arrayILj1024EdlEEvT1_PT0_,@function
_ZN9rocsparseL25kernel_set_identity_arrayILj1024EdlEEvT1_PT0_: ; @_ZN9rocsparseL25kernel_set_identity_arrayILj1024EdlEEvT1_PT0_
; %bb.0:
	s_load_dword s7, s[4:5], 0x1c
	s_load_dwordx4 s[0:3], s[4:5], 0x0
	v_mov_b32_e32 v1, 0
	s_waitcnt lgkmcnt(0)
	s_and_b32 s4, s7, 0xffff
	s_mul_i32 s6, s6, s4
	v_add_u32_e32 v0, s6, v0
	v_cmp_gt_i64_e32 vcc, s[0:1], v[0:1]
	s_and_saveexec_b64 s[0:1], vcc
	s_cbranch_execz .LBB45_2
; %bb.1:
	v_lshlrev_b64 v[2:3], 3, v[0:1]
	v_mov_b32_e32 v0, s3
	v_add_co_u32_e32 v2, vcc, s2, v2
	v_addc_co_u32_e32 v3, vcc, v0, v3, vcc
	v_mov_b32_e32 v5, 0x3ff00000
	v_mov_b32_e32 v4, v1
	global_store_dwordx2 v[2:3], v[4:5], off
.LBB45_2:
	s_endpgm
	.section	.rodata,"a",@progbits
	.p2align	6, 0x0
	.amdhsa_kernel _ZN9rocsparseL25kernel_set_identity_arrayILj1024EdlEEvT1_PT0_
		.amdhsa_group_segment_fixed_size 0
		.amdhsa_private_segment_fixed_size 0
		.amdhsa_kernarg_size 272
		.amdhsa_user_sgpr_count 6
		.amdhsa_user_sgpr_private_segment_buffer 1
		.amdhsa_user_sgpr_dispatch_ptr 0
		.amdhsa_user_sgpr_queue_ptr 0
		.amdhsa_user_sgpr_kernarg_segment_ptr 1
		.amdhsa_user_sgpr_dispatch_id 0
		.amdhsa_user_sgpr_flat_scratch_init 0
		.amdhsa_user_sgpr_kernarg_preload_length 0
		.amdhsa_user_sgpr_kernarg_preload_offset 0
		.amdhsa_user_sgpr_private_segment_size 0
		.amdhsa_uses_dynamic_stack 0
		.amdhsa_system_sgpr_private_segment_wavefront_offset 0
		.amdhsa_system_sgpr_workgroup_id_x 1
		.amdhsa_system_sgpr_workgroup_id_y 0
		.amdhsa_system_sgpr_workgroup_id_z 0
		.amdhsa_system_sgpr_workgroup_info 0
		.amdhsa_system_vgpr_workitem_id 0
		.amdhsa_next_free_vgpr 6
		.amdhsa_next_free_sgpr 8
		.amdhsa_accum_offset 8
		.amdhsa_reserve_vcc 1
		.amdhsa_reserve_flat_scratch 0
		.amdhsa_float_round_mode_32 0
		.amdhsa_float_round_mode_16_64 0
		.amdhsa_float_denorm_mode_32 3
		.amdhsa_float_denorm_mode_16_64 3
		.amdhsa_dx10_clamp 1
		.amdhsa_ieee_mode 1
		.amdhsa_fp16_overflow 0
		.amdhsa_tg_split 0
		.amdhsa_exception_fp_ieee_invalid_op 0
		.amdhsa_exception_fp_denorm_src 0
		.amdhsa_exception_fp_ieee_div_zero 0
		.amdhsa_exception_fp_ieee_overflow 0
		.amdhsa_exception_fp_ieee_underflow 0
		.amdhsa_exception_fp_ieee_inexact 0
		.amdhsa_exception_int_div_zero 0
	.end_amdhsa_kernel
	.section	.text._ZN9rocsparseL25kernel_set_identity_arrayILj1024EdlEEvT1_PT0_,"axG",@progbits,_ZN9rocsparseL25kernel_set_identity_arrayILj1024EdlEEvT1_PT0_,comdat
.Lfunc_end45:
	.size	_ZN9rocsparseL25kernel_set_identity_arrayILj1024EdlEEvT1_PT0_, .Lfunc_end45-_ZN9rocsparseL25kernel_set_identity_arrayILj1024EdlEEvT1_PT0_
                                        ; -- End function
	.section	.AMDGPU.csdata,"",@progbits
; Kernel info:
; codeLenInByte = 96
; NumSgprs: 12
; NumVgprs: 6
; NumAgprs: 0
; TotalNumVgprs: 6
; ScratchSize: 0
; MemoryBound: 0
; FloatMode: 240
; IeeeMode: 1
; LDSByteSize: 0 bytes/workgroup (compile time only)
; SGPRBlocks: 1
; VGPRBlocks: 0
; NumSGPRsForWavesPerEU: 12
; NumVGPRsForWavesPerEU: 6
; AccumOffset: 8
; Occupancy: 8
; WaveLimiterHint : 0
; COMPUTE_PGM_RSRC2:SCRATCH_EN: 0
; COMPUTE_PGM_RSRC2:USER_SGPR: 6
; COMPUTE_PGM_RSRC2:TRAP_HANDLER: 0
; COMPUTE_PGM_RSRC2:TGID_X_EN: 1
; COMPUTE_PGM_RSRC2:TGID_Y_EN: 0
; COMPUTE_PGM_RSRC2:TGID_Z_EN: 0
; COMPUTE_PGM_RSRC2:TIDIG_COMP_CNT: 0
; COMPUTE_PGM_RSRC3_GFX90A:ACCUM_OFFSET: 1
; COMPUTE_PGM_RSRC3_GFX90A:TG_SPLIT: 0
	.section	.text._ZN9rocsparseL25kernel_get_permuted_arrayILj1024EdlEEvT1_PKT0_PS2_PKS1_,"axG",@progbits,_ZN9rocsparseL25kernel_get_permuted_arrayILj1024EdlEEvT1_PKT0_PS2_PKS1_,comdat
	.globl	_ZN9rocsparseL25kernel_get_permuted_arrayILj1024EdlEEvT1_PKT0_PS2_PKS1_ ; -- Begin function _ZN9rocsparseL25kernel_get_permuted_arrayILj1024EdlEEvT1_PKT0_PS2_PKS1_
	.p2align	8
	.type	_ZN9rocsparseL25kernel_get_permuted_arrayILj1024EdlEEvT1_PKT0_PS2_PKS1_,@function
_ZN9rocsparseL25kernel_get_permuted_arrayILj1024EdlEEvT1_PKT0_PS2_PKS1_: ; @_ZN9rocsparseL25kernel_get_permuted_arrayILj1024EdlEEvT1_PKT0_PS2_PKS1_
; %bb.0:
	s_load_dword s0, s[4:5], 0x2c
	s_load_dwordx8 s[8:15], s[4:5], 0x0
	v_mov_b32_e32 v1, 0
	s_waitcnt lgkmcnt(0)
	s_and_b32 s0, s0, 0xffff
	s_mul_i32 s6, s6, s0
	v_add_u32_e32 v0, s6, v0
	v_cmp_gt_i64_e32 vcc, s[8:9], v[0:1]
	s_and_saveexec_b64 s[0:1], vcc
	s_cbranch_execz .LBB46_2
; %bb.1:
	v_lshlrev_b64 v[0:1], 3, v[0:1]
	v_mov_b32_e32 v3, s15
	v_add_co_u32_e32 v2, vcc, s14, v0
	v_addc_co_u32_e32 v3, vcc, v3, v1, vcc
	global_load_dwordx2 v[2:3], v[2:3], off
	v_mov_b32_e32 v4, s11
	s_waitcnt vmcnt(0)
	v_lshlrev_b64 v[2:3], 3, v[2:3]
	v_add_co_u32_e32 v2, vcc, s10, v2
	v_addc_co_u32_e32 v3, vcc, v4, v3, vcc
	global_load_dwordx2 v[2:3], v[2:3], off
	v_mov_b32_e32 v4, s13
	v_add_co_u32_e32 v0, vcc, s12, v0
	v_addc_co_u32_e32 v1, vcc, v4, v1, vcc
	s_waitcnt vmcnt(0)
	global_store_dwordx2 v[0:1], v[2:3], off
.LBB46_2:
	s_endpgm
	.section	.rodata,"a",@progbits
	.p2align	6, 0x0
	.amdhsa_kernel _ZN9rocsparseL25kernel_get_permuted_arrayILj1024EdlEEvT1_PKT0_PS2_PKS1_
		.amdhsa_group_segment_fixed_size 0
		.amdhsa_private_segment_fixed_size 0
		.amdhsa_kernarg_size 288
		.amdhsa_user_sgpr_count 6
		.amdhsa_user_sgpr_private_segment_buffer 1
		.amdhsa_user_sgpr_dispatch_ptr 0
		.amdhsa_user_sgpr_queue_ptr 0
		.amdhsa_user_sgpr_kernarg_segment_ptr 1
		.amdhsa_user_sgpr_dispatch_id 0
		.amdhsa_user_sgpr_flat_scratch_init 0
		.amdhsa_user_sgpr_kernarg_preload_length 0
		.amdhsa_user_sgpr_kernarg_preload_offset 0
		.amdhsa_user_sgpr_private_segment_size 0
		.amdhsa_uses_dynamic_stack 0
		.amdhsa_system_sgpr_private_segment_wavefront_offset 0
		.amdhsa_system_sgpr_workgroup_id_x 1
		.amdhsa_system_sgpr_workgroup_id_y 0
		.amdhsa_system_sgpr_workgroup_id_z 0
		.amdhsa_system_sgpr_workgroup_info 0
		.amdhsa_system_vgpr_workitem_id 0
		.amdhsa_next_free_vgpr 5
		.amdhsa_next_free_sgpr 16
		.amdhsa_accum_offset 8
		.amdhsa_reserve_vcc 1
		.amdhsa_reserve_flat_scratch 0
		.amdhsa_float_round_mode_32 0
		.amdhsa_float_round_mode_16_64 0
		.amdhsa_float_denorm_mode_32 3
		.amdhsa_float_denorm_mode_16_64 3
		.amdhsa_dx10_clamp 1
		.amdhsa_ieee_mode 1
		.amdhsa_fp16_overflow 0
		.amdhsa_tg_split 0
		.amdhsa_exception_fp_ieee_invalid_op 0
		.amdhsa_exception_fp_denorm_src 0
		.amdhsa_exception_fp_ieee_div_zero 0
		.amdhsa_exception_fp_ieee_overflow 0
		.amdhsa_exception_fp_ieee_underflow 0
		.amdhsa_exception_fp_ieee_inexact 0
		.amdhsa_exception_int_div_zero 0
	.end_amdhsa_kernel
	.section	.text._ZN9rocsparseL25kernel_get_permuted_arrayILj1024EdlEEvT1_PKT0_PS2_PKS1_,"axG",@progbits,_ZN9rocsparseL25kernel_get_permuted_arrayILj1024EdlEEvT1_PKT0_PS2_PKS1_,comdat
.Lfunc_end46:
	.size	_ZN9rocsparseL25kernel_get_permuted_arrayILj1024EdlEEvT1_PKT0_PS2_PKS1_, .Lfunc_end46-_ZN9rocsparseL25kernel_get_permuted_arrayILj1024EdlEEvT1_PKT0_PS2_PKS1_
                                        ; -- End function
	.section	.AMDGPU.csdata,"",@progbits
; Kernel info:
; codeLenInByte = 140
; NumSgprs: 20
; NumVgprs: 5
; NumAgprs: 0
; TotalNumVgprs: 5
; ScratchSize: 0
; MemoryBound: 0
; FloatMode: 240
; IeeeMode: 1
; LDSByteSize: 0 bytes/workgroup (compile time only)
; SGPRBlocks: 2
; VGPRBlocks: 0
; NumSGPRsForWavesPerEU: 20
; NumVGPRsForWavesPerEU: 5
; AccumOffset: 8
; Occupancy: 8
; WaveLimiterHint : 1
; COMPUTE_PGM_RSRC2:SCRATCH_EN: 0
; COMPUTE_PGM_RSRC2:USER_SGPR: 6
; COMPUTE_PGM_RSRC2:TRAP_HANDLER: 0
; COMPUTE_PGM_RSRC2:TGID_X_EN: 1
; COMPUTE_PGM_RSRC2:TGID_Y_EN: 0
; COMPUTE_PGM_RSRC2:TGID_Z_EN: 0
; COMPUTE_PGM_RSRC2:TIDIG_COMP_CNT: 0
; COMPUTE_PGM_RSRC3_GFX90A:ACCUM_OFFSET: 1
; COMPUTE_PGM_RSRC3_GFX90A:TG_SPLIT: 0
	.section	.text._ZN9rocsparseL25kernel_set_permuted_arrayILj1024EdlEEvT1_PT0_PKS2_PKS1_,"axG",@progbits,_ZN9rocsparseL25kernel_set_permuted_arrayILj1024EdlEEvT1_PT0_PKS2_PKS1_,comdat
	.globl	_ZN9rocsparseL25kernel_set_permuted_arrayILj1024EdlEEvT1_PT0_PKS2_PKS1_ ; -- Begin function _ZN9rocsparseL25kernel_set_permuted_arrayILj1024EdlEEvT1_PT0_PKS2_PKS1_
	.p2align	8
	.type	_ZN9rocsparseL25kernel_set_permuted_arrayILj1024EdlEEvT1_PT0_PKS2_PKS1_,@function
_ZN9rocsparseL25kernel_set_permuted_arrayILj1024EdlEEvT1_PT0_PKS2_PKS1_: ; @_ZN9rocsparseL25kernel_set_permuted_arrayILj1024EdlEEvT1_PT0_PKS2_PKS1_
; %bb.0:
	s_load_dword s0, s[4:5], 0x2c
	s_load_dwordx8 s[8:15], s[4:5], 0x0
	v_mov_b32_e32 v1, 0
	s_waitcnt lgkmcnt(0)
	s_and_b32 s0, s0, 0xffff
	s_mul_i32 s6, s6, s0
	v_add_u32_e32 v0, s6, v0
	v_cmp_gt_i64_e32 vcc, s[8:9], v[0:1]
	s_and_saveexec_b64 s[0:1], vcc
	s_cbranch_execz .LBB47_2
; %bb.1:
	v_lshlrev_b64 v[0:1], 3, v[0:1]
	v_mov_b32_e32 v3, s15
	v_add_co_u32_e32 v2, vcc, s14, v0
	v_addc_co_u32_e32 v3, vcc, v3, v1, vcc
	global_load_dwordx2 v[2:3], v[2:3], off
	v_mov_b32_e32 v4, s13
	v_add_co_u32_e32 v0, vcc, s12, v0
	v_addc_co_u32_e32 v1, vcc, v4, v1, vcc
	global_load_dwordx2 v[0:1], v[0:1], off
	v_mov_b32_e32 v4, s11
	s_waitcnt vmcnt(1)
	v_lshlrev_b64 v[2:3], 3, v[2:3]
	v_add_co_u32_e32 v2, vcc, s10, v2
	v_addc_co_u32_e32 v3, vcc, v4, v3, vcc
	s_waitcnt vmcnt(0)
	global_store_dwordx2 v[2:3], v[0:1], off
.LBB47_2:
	s_endpgm
	.section	.rodata,"a",@progbits
	.p2align	6, 0x0
	.amdhsa_kernel _ZN9rocsparseL25kernel_set_permuted_arrayILj1024EdlEEvT1_PT0_PKS2_PKS1_
		.amdhsa_group_segment_fixed_size 0
		.amdhsa_private_segment_fixed_size 0
		.amdhsa_kernarg_size 288
		.amdhsa_user_sgpr_count 6
		.amdhsa_user_sgpr_private_segment_buffer 1
		.amdhsa_user_sgpr_dispatch_ptr 0
		.amdhsa_user_sgpr_queue_ptr 0
		.amdhsa_user_sgpr_kernarg_segment_ptr 1
		.amdhsa_user_sgpr_dispatch_id 0
		.amdhsa_user_sgpr_flat_scratch_init 0
		.amdhsa_user_sgpr_kernarg_preload_length 0
		.amdhsa_user_sgpr_kernarg_preload_offset 0
		.amdhsa_user_sgpr_private_segment_size 0
		.amdhsa_uses_dynamic_stack 0
		.amdhsa_system_sgpr_private_segment_wavefront_offset 0
		.amdhsa_system_sgpr_workgroup_id_x 1
		.amdhsa_system_sgpr_workgroup_id_y 0
		.amdhsa_system_sgpr_workgroup_id_z 0
		.amdhsa_system_sgpr_workgroup_info 0
		.amdhsa_system_vgpr_workitem_id 0
		.amdhsa_next_free_vgpr 5
		.amdhsa_next_free_sgpr 16
		.amdhsa_accum_offset 8
		.amdhsa_reserve_vcc 1
		.amdhsa_reserve_flat_scratch 0
		.amdhsa_float_round_mode_32 0
		.amdhsa_float_round_mode_16_64 0
		.amdhsa_float_denorm_mode_32 3
		.amdhsa_float_denorm_mode_16_64 3
		.amdhsa_dx10_clamp 1
		.amdhsa_ieee_mode 1
		.amdhsa_fp16_overflow 0
		.amdhsa_tg_split 0
		.amdhsa_exception_fp_ieee_invalid_op 0
		.amdhsa_exception_fp_denorm_src 0
		.amdhsa_exception_fp_ieee_div_zero 0
		.amdhsa_exception_fp_ieee_overflow 0
		.amdhsa_exception_fp_ieee_underflow 0
		.amdhsa_exception_fp_ieee_inexact 0
		.amdhsa_exception_int_div_zero 0
	.end_amdhsa_kernel
	.section	.text._ZN9rocsparseL25kernel_set_permuted_arrayILj1024EdlEEvT1_PT0_PKS2_PKS1_,"axG",@progbits,_ZN9rocsparseL25kernel_set_permuted_arrayILj1024EdlEEvT1_PT0_PKS2_PKS1_,comdat
.Lfunc_end47:
	.size	_ZN9rocsparseL25kernel_set_permuted_arrayILj1024EdlEEvT1_PT0_PKS2_PKS1_, .Lfunc_end47-_ZN9rocsparseL25kernel_set_permuted_arrayILj1024EdlEEvT1_PT0_PKS2_PKS1_
                                        ; -- End function
	.section	.AMDGPU.csdata,"",@progbits
; Kernel info:
; codeLenInByte = 140
; NumSgprs: 20
; NumVgprs: 5
; NumAgprs: 0
; TotalNumVgprs: 5
; ScratchSize: 0
; MemoryBound: 0
; FloatMode: 240
; IeeeMode: 1
; LDSByteSize: 0 bytes/workgroup (compile time only)
; SGPRBlocks: 2
; VGPRBlocks: 0
; NumSGPRsForWavesPerEU: 20
; NumVGPRsForWavesPerEU: 5
; AccumOffset: 8
; Occupancy: 8
; WaveLimiterHint : 1
; COMPUTE_PGM_RSRC2:SCRATCH_EN: 0
; COMPUTE_PGM_RSRC2:USER_SGPR: 6
; COMPUTE_PGM_RSRC2:TRAP_HANDLER: 0
; COMPUTE_PGM_RSRC2:TGID_X_EN: 1
; COMPUTE_PGM_RSRC2:TGID_Y_EN: 0
; COMPUTE_PGM_RSRC2:TGID_Z_EN: 0
; COMPUTE_PGM_RSRC2:TIDIG_COMP_CNT: 0
; COMPUTE_PGM_RSRC3_GFX90A:ACCUM_OFFSET: 1
; COMPUTE_PGM_RSRC3_GFX90A:TG_SPLIT: 0
	.section	.text._ZN9rocsparseL25kernel_set_identity_arrayILj1024E21rocsparse_complex_numIfElEEvT1_PT0_,"axG",@progbits,_ZN9rocsparseL25kernel_set_identity_arrayILj1024E21rocsparse_complex_numIfElEEvT1_PT0_,comdat
	.globl	_ZN9rocsparseL25kernel_set_identity_arrayILj1024E21rocsparse_complex_numIfElEEvT1_PT0_ ; -- Begin function _ZN9rocsparseL25kernel_set_identity_arrayILj1024E21rocsparse_complex_numIfElEEvT1_PT0_
	.p2align	8
	.type	_ZN9rocsparseL25kernel_set_identity_arrayILj1024E21rocsparse_complex_numIfElEEvT1_PT0_,@function
_ZN9rocsparseL25kernel_set_identity_arrayILj1024E21rocsparse_complex_numIfElEEvT1_PT0_: ; @_ZN9rocsparseL25kernel_set_identity_arrayILj1024E21rocsparse_complex_numIfElEEvT1_PT0_
; %bb.0:
	s_load_dword s7, s[4:5], 0x1c
	s_load_dwordx4 s[0:3], s[4:5], 0x0
	v_mov_b32_e32 v1, 0
	s_waitcnt lgkmcnt(0)
	s_and_b32 s4, s7, 0xffff
	s_mul_i32 s6, s6, s4
	v_add_u32_e32 v0, s6, v0
	v_cmp_gt_i64_e32 vcc, s[0:1], v[0:1]
	s_and_saveexec_b64 s[0:1], vcc
	s_cbranch_execz .LBB48_2
; %bb.1:
	v_lshlrev_b64 v[2:3], 3, v[0:1]
	v_mov_b32_e32 v0, s3
	v_add_co_u32_e32 v2, vcc, s2, v2
	v_addc_co_u32_e32 v3, vcc, v0, v3, vcc
	v_mov_b32_e32 v0, 1.0
	global_store_dwordx2 v[2:3], v[0:1], off
.LBB48_2:
	s_endpgm
	.section	.rodata,"a",@progbits
	.p2align	6, 0x0
	.amdhsa_kernel _ZN9rocsparseL25kernel_set_identity_arrayILj1024E21rocsparse_complex_numIfElEEvT1_PT0_
		.amdhsa_group_segment_fixed_size 0
		.amdhsa_private_segment_fixed_size 0
		.amdhsa_kernarg_size 272
		.amdhsa_user_sgpr_count 6
		.amdhsa_user_sgpr_private_segment_buffer 1
		.amdhsa_user_sgpr_dispatch_ptr 0
		.amdhsa_user_sgpr_queue_ptr 0
		.amdhsa_user_sgpr_kernarg_segment_ptr 1
		.amdhsa_user_sgpr_dispatch_id 0
		.amdhsa_user_sgpr_flat_scratch_init 0
		.amdhsa_user_sgpr_kernarg_preload_length 0
		.amdhsa_user_sgpr_kernarg_preload_offset 0
		.amdhsa_user_sgpr_private_segment_size 0
		.amdhsa_uses_dynamic_stack 0
		.amdhsa_system_sgpr_private_segment_wavefront_offset 0
		.amdhsa_system_sgpr_workgroup_id_x 1
		.amdhsa_system_sgpr_workgroup_id_y 0
		.amdhsa_system_sgpr_workgroup_id_z 0
		.amdhsa_system_sgpr_workgroup_info 0
		.amdhsa_system_vgpr_workitem_id 0
		.amdhsa_next_free_vgpr 4
		.amdhsa_next_free_sgpr 8
		.amdhsa_accum_offset 4
		.amdhsa_reserve_vcc 1
		.amdhsa_reserve_flat_scratch 0
		.amdhsa_float_round_mode_32 0
		.amdhsa_float_round_mode_16_64 0
		.amdhsa_float_denorm_mode_32 3
		.amdhsa_float_denorm_mode_16_64 3
		.amdhsa_dx10_clamp 1
		.amdhsa_ieee_mode 1
		.amdhsa_fp16_overflow 0
		.amdhsa_tg_split 0
		.amdhsa_exception_fp_ieee_invalid_op 0
		.amdhsa_exception_fp_denorm_src 0
		.amdhsa_exception_fp_ieee_div_zero 0
		.amdhsa_exception_fp_ieee_overflow 0
		.amdhsa_exception_fp_ieee_underflow 0
		.amdhsa_exception_fp_ieee_inexact 0
		.amdhsa_exception_int_div_zero 0
	.end_amdhsa_kernel
	.section	.text._ZN9rocsparseL25kernel_set_identity_arrayILj1024E21rocsparse_complex_numIfElEEvT1_PT0_,"axG",@progbits,_ZN9rocsparseL25kernel_set_identity_arrayILj1024E21rocsparse_complex_numIfElEEvT1_PT0_,comdat
.Lfunc_end48:
	.size	_ZN9rocsparseL25kernel_set_identity_arrayILj1024E21rocsparse_complex_numIfElEEvT1_PT0_, .Lfunc_end48-_ZN9rocsparseL25kernel_set_identity_arrayILj1024E21rocsparse_complex_numIfElEEvT1_PT0_
                                        ; -- End function
	.section	.AMDGPU.csdata,"",@progbits
; Kernel info:
; codeLenInByte = 88
; NumSgprs: 12
; NumVgprs: 4
; NumAgprs: 0
; TotalNumVgprs: 4
; ScratchSize: 0
; MemoryBound: 0
; FloatMode: 240
; IeeeMode: 1
; LDSByteSize: 0 bytes/workgroup (compile time only)
; SGPRBlocks: 1
; VGPRBlocks: 0
; NumSGPRsForWavesPerEU: 12
; NumVGPRsForWavesPerEU: 4
; AccumOffset: 4
; Occupancy: 8
; WaveLimiterHint : 0
; COMPUTE_PGM_RSRC2:SCRATCH_EN: 0
; COMPUTE_PGM_RSRC2:USER_SGPR: 6
; COMPUTE_PGM_RSRC2:TRAP_HANDLER: 0
; COMPUTE_PGM_RSRC2:TGID_X_EN: 1
; COMPUTE_PGM_RSRC2:TGID_Y_EN: 0
; COMPUTE_PGM_RSRC2:TGID_Z_EN: 0
; COMPUTE_PGM_RSRC2:TIDIG_COMP_CNT: 0
; COMPUTE_PGM_RSRC3_GFX90A:ACCUM_OFFSET: 0
; COMPUTE_PGM_RSRC3_GFX90A:TG_SPLIT: 0
	.section	.text._ZN9rocsparseL25kernel_get_permuted_arrayILj1024E21rocsparse_complex_numIfElEEvT1_PKT0_PS4_PKS3_,"axG",@progbits,_ZN9rocsparseL25kernel_get_permuted_arrayILj1024E21rocsparse_complex_numIfElEEvT1_PKT0_PS4_PKS3_,comdat
	.globl	_ZN9rocsparseL25kernel_get_permuted_arrayILj1024E21rocsparse_complex_numIfElEEvT1_PKT0_PS4_PKS3_ ; -- Begin function _ZN9rocsparseL25kernel_get_permuted_arrayILj1024E21rocsparse_complex_numIfElEEvT1_PKT0_PS4_PKS3_
	.p2align	8
	.type	_ZN9rocsparseL25kernel_get_permuted_arrayILj1024E21rocsparse_complex_numIfElEEvT1_PKT0_PS4_PKS3_,@function
_ZN9rocsparseL25kernel_get_permuted_arrayILj1024E21rocsparse_complex_numIfElEEvT1_PKT0_PS4_PKS3_: ; @_ZN9rocsparseL25kernel_get_permuted_arrayILj1024E21rocsparse_complex_numIfElEEvT1_PKT0_PS4_PKS3_
; %bb.0:
	s_load_dword s0, s[4:5], 0x2c
	s_load_dwordx8 s[8:15], s[4:5], 0x0
	v_mov_b32_e32 v1, 0
	s_waitcnt lgkmcnt(0)
	s_and_b32 s0, s0, 0xffff
	s_mul_i32 s6, s6, s0
	v_add_u32_e32 v0, s6, v0
	v_cmp_gt_i64_e32 vcc, s[8:9], v[0:1]
	s_and_saveexec_b64 s[0:1], vcc
	s_cbranch_execz .LBB49_2
; %bb.1:
	v_lshlrev_b64 v[0:1], 3, v[0:1]
	v_mov_b32_e32 v3, s15
	v_add_co_u32_e32 v2, vcc, s14, v0
	v_addc_co_u32_e32 v3, vcc, v3, v1, vcc
	global_load_dwordx2 v[2:3], v[2:3], off
	v_mov_b32_e32 v4, s11
	s_waitcnt vmcnt(0)
	v_lshlrev_b64 v[2:3], 3, v[2:3]
	v_add_co_u32_e32 v2, vcc, s10, v2
	v_addc_co_u32_e32 v3, vcc, v4, v3, vcc
	global_load_dwordx2 v[2:3], v[2:3], off
	v_mov_b32_e32 v4, s13
	v_add_co_u32_e32 v0, vcc, s12, v0
	v_addc_co_u32_e32 v1, vcc, v4, v1, vcc
	s_waitcnt vmcnt(0)
	global_store_dwordx2 v[0:1], v[2:3], off
.LBB49_2:
	s_endpgm
	.section	.rodata,"a",@progbits
	.p2align	6, 0x0
	.amdhsa_kernel _ZN9rocsparseL25kernel_get_permuted_arrayILj1024E21rocsparse_complex_numIfElEEvT1_PKT0_PS4_PKS3_
		.amdhsa_group_segment_fixed_size 0
		.amdhsa_private_segment_fixed_size 0
		.amdhsa_kernarg_size 288
		.amdhsa_user_sgpr_count 6
		.amdhsa_user_sgpr_private_segment_buffer 1
		.amdhsa_user_sgpr_dispatch_ptr 0
		.amdhsa_user_sgpr_queue_ptr 0
		.amdhsa_user_sgpr_kernarg_segment_ptr 1
		.amdhsa_user_sgpr_dispatch_id 0
		.amdhsa_user_sgpr_flat_scratch_init 0
		.amdhsa_user_sgpr_kernarg_preload_length 0
		.amdhsa_user_sgpr_kernarg_preload_offset 0
		.amdhsa_user_sgpr_private_segment_size 0
		.amdhsa_uses_dynamic_stack 0
		.amdhsa_system_sgpr_private_segment_wavefront_offset 0
		.amdhsa_system_sgpr_workgroup_id_x 1
		.amdhsa_system_sgpr_workgroup_id_y 0
		.amdhsa_system_sgpr_workgroup_id_z 0
		.amdhsa_system_sgpr_workgroup_info 0
		.amdhsa_system_vgpr_workitem_id 0
		.amdhsa_next_free_vgpr 5
		.amdhsa_next_free_sgpr 16
		.amdhsa_accum_offset 8
		.amdhsa_reserve_vcc 1
		.amdhsa_reserve_flat_scratch 0
		.amdhsa_float_round_mode_32 0
		.amdhsa_float_round_mode_16_64 0
		.amdhsa_float_denorm_mode_32 3
		.amdhsa_float_denorm_mode_16_64 3
		.amdhsa_dx10_clamp 1
		.amdhsa_ieee_mode 1
		.amdhsa_fp16_overflow 0
		.amdhsa_tg_split 0
		.amdhsa_exception_fp_ieee_invalid_op 0
		.amdhsa_exception_fp_denorm_src 0
		.amdhsa_exception_fp_ieee_div_zero 0
		.amdhsa_exception_fp_ieee_overflow 0
		.amdhsa_exception_fp_ieee_underflow 0
		.amdhsa_exception_fp_ieee_inexact 0
		.amdhsa_exception_int_div_zero 0
	.end_amdhsa_kernel
	.section	.text._ZN9rocsparseL25kernel_get_permuted_arrayILj1024E21rocsparse_complex_numIfElEEvT1_PKT0_PS4_PKS3_,"axG",@progbits,_ZN9rocsparseL25kernel_get_permuted_arrayILj1024E21rocsparse_complex_numIfElEEvT1_PKT0_PS4_PKS3_,comdat
.Lfunc_end49:
	.size	_ZN9rocsparseL25kernel_get_permuted_arrayILj1024E21rocsparse_complex_numIfElEEvT1_PKT0_PS4_PKS3_, .Lfunc_end49-_ZN9rocsparseL25kernel_get_permuted_arrayILj1024E21rocsparse_complex_numIfElEEvT1_PKT0_PS4_PKS3_
                                        ; -- End function
	.section	.AMDGPU.csdata,"",@progbits
; Kernel info:
; codeLenInByte = 140
; NumSgprs: 20
; NumVgprs: 5
; NumAgprs: 0
; TotalNumVgprs: 5
; ScratchSize: 0
; MemoryBound: 0
; FloatMode: 240
; IeeeMode: 1
; LDSByteSize: 0 bytes/workgroup (compile time only)
; SGPRBlocks: 2
; VGPRBlocks: 0
; NumSGPRsForWavesPerEU: 20
; NumVGPRsForWavesPerEU: 5
; AccumOffset: 8
; Occupancy: 8
; WaveLimiterHint : 1
; COMPUTE_PGM_RSRC2:SCRATCH_EN: 0
; COMPUTE_PGM_RSRC2:USER_SGPR: 6
; COMPUTE_PGM_RSRC2:TRAP_HANDLER: 0
; COMPUTE_PGM_RSRC2:TGID_X_EN: 1
; COMPUTE_PGM_RSRC2:TGID_Y_EN: 0
; COMPUTE_PGM_RSRC2:TGID_Z_EN: 0
; COMPUTE_PGM_RSRC2:TIDIG_COMP_CNT: 0
; COMPUTE_PGM_RSRC3_GFX90A:ACCUM_OFFSET: 1
; COMPUTE_PGM_RSRC3_GFX90A:TG_SPLIT: 0
	.section	.text._ZN9rocsparseL25kernel_set_permuted_arrayILj1024E21rocsparse_complex_numIfElEEvT1_PT0_PKS4_PKS3_,"axG",@progbits,_ZN9rocsparseL25kernel_set_permuted_arrayILj1024E21rocsparse_complex_numIfElEEvT1_PT0_PKS4_PKS3_,comdat
	.globl	_ZN9rocsparseL25kernel_set_permuted_arrayILj1024E21rocsparse_complex_numIfElEEvT1_PT0_PKS4_PKS3_ ; -- Begin function _ZN9rocsparseL25kernel_set_permuted_arrayILj1024E21rocsparse_complex_numIfElEEvT1_PT0_PKS4_PKS3_
	.p2align	8
	.type	_ZN9rocsparseL25kernel_set_permuted_arrayILj1024E21rocsparse_complex_numIfElEEvT1_PT0_PKS4_PKS3_,@function
_ZN9rocsparseL25kernel_set_permuted_arrayILj1024E21rocsparse_complex_numIfElEEvT1_PT0_PKS4_PKS3_: ; @_ZN9rocsparseL25kernel_set_permuted_arrayILj1024E21rocsparse_complex_numIfElEEvT1_PT0_PKS4_PKS3_
; %bb.0:
	s_load_dword s0, s[4:5], 0x2c
	s_load_dwordx8 s[8:15], s[4:5], 0x0
	v_mov_b32_e32 v1, 0
	s_waitcnt lgkmcnt(0)
	s_and_b32 s0, s0, 0xffff
	s_mul_i32 s6, s6, s0
	v_add_u32_e32 v0, s6, v0
	v_cmp_gt_i64_e32 vcc, s[8:9], v[0:1]
	s_and_saveexec_b64 s[0:1], vcc
	s_cbranch_execz .LBB50_2
; %bb.1:
	v_lshlrev_b64 v[0:1], 3, v[0:1]
	v_mov_b32_e32 v3, s15
	v_add_co_u32_e32 v2, vcc, s14, v0
	v_addc_co_u32_e32 v3, vcc, v3, v1, vcc
	global_load_dwordx2 v[2:3], v[2:3], off
	v_mov_b32_e32 v4, s13
	v_add_co_u32_e32 v0, vcc, s12, v0
	v_addc_co_u32_e32 v1, vcc, v4, v1, vcc
	global_load_dwordx2 v[0:1], v[0:1], off
	v_mov_b32_e32 v4, s11
	s_waitcnt vmcnt(1)
	v_lshlrev_b64 v[2:3], 3, v[2:3]
	v_add_co_u32_e32 v2, vcc, s10, v2
	v_addc_co_u32_e32 v3, vcc, v4, v3, vcc
	s_waitcnt vmcnt(0)
	global_store_dwordx2 v[2:3], v[0:1], off
.LBB50_2:
	s_endpgm
	.section	.rodata,"a",@progbits
	.p2align	6, 0x0
	.amdhsa_kernel _ZN9rocsparseL25kernel_set_permuted_arrayILj1024E21rocsparse_complex_numIfElEEvT1_PT0_PKS4_PKS3_
		.amdhsa_group_segment_fixed_size 0
		.amdhsa_private_segment_fixed_size 0
		.amdhsa_kernarg_size 288
		.amdhsa_user_sgpr_count 6
		.amdhsa_user_sgpr_private_segment_buffer 1
		.amdhsa_user_sgpr_dispatch_ptr 0
		.amdhsa_user_sgpr_queue_ptr 0
		.amdhsa_user_sgpr_kernarg_segment_ptr 1
		.amdhsa_user_sgpr_dispatch_id 0
		.amdhsa_user_sgpr_flat_scratch_init 0
		.amdhsa_user_sgpr_kernarg_preload_length 0
		.amdhsa_user_sgpr_kernarg_preload_offset 0
		.amdhsa_user_sgpr_private_segment_size 0
		.amdhsa_uses_dynamic_stack 0
		.amdhsa_system_sgpr_private_segment_wavefront_offset 0
		.amdhsa_system_sgpr_workgroup_id_x 1
		.amdhsa_system_sgpr_workgroup_id_y 0
		.amdhsa_system_sgpr_workgroup_id_z 0
		.amdhsa_system_sgpr_workgroup_info 0
		.amdhsa_system_vgpr_workitem_id 0
		.amdhsa_next_free_vgpr 5
		.amdhsa_next_free_sgpr 16
		.amdhsa_accum_offset 8
		.amdhsa_reserve_vcc 1
		.amdhsa_reserve_flat_scratch 0
		.amdhsa_float_round_mode_32 0
		.amdhsa_float_round_mode_16_64 0
		.amdhsa_float_denorm_mode_32 3
		.amdhsa_float_denorm_mode_16_64 3
		.amdhsa_dx10_clamp 1
		.amdhsa_ieee_mode 1
		.amdhsa_fp16_overflow 0
		.amdhsa_tg_split 0
		.amdhsa_exception_fp_ieee_invalid_op 0
		.amdhsa_exception_fp_denorm_src 0
		.amdhsa_exception_fp_ieee_div_zero 0
		.amdhsa_exception_fp_ieee_overflow 0
		.amdhsa_exception_fp_ieee_underflow 0
		.amdhsa_exception_fp_ieee_inexact 0
		.amdhsa_exception_int_div_zero 0
	.end_amdhsa_kernel
	.section	.text._ZN9rocsparseL25kernel_set_permuted_arrayILj1024E21rocsparse_complex_numIfElEEvT1_PT0_PKS4_PKS3_,"axG",@progbits,_ZN9rocsparseL25kernel_set_permuted_arrayILj1024E21rocsparse_complex_numIfElEEvT1_PT0_PKS4_PKS3_,comdat
.Lfunc_end50:
	.size	_ZN9rocsparseL25kernel_set_permuted_arrayILj1024E21rocsparse_complex_numIfElEEvT1_PT0_PKS4_PKS3_, .Lfunc_end50-_ZN9rocsparseL25kernel_set_permuted_arrayILj1024E21rocsparse_complex_numIfElEEvT1_PT0_PKS4_PKS3_
                                        ; -- End function
	.section	.AMDGPU.csdata,"",@progbits
; Kernel info:
; codeLenInByte = 140
; NumSgprs: 20
; NumVgprs: 5
; NumAgprs: 0
; TotalNumVgprs: 5
; ScratchSize: 0
; MemoryBound: 0
; FloatMode: 240
; IeeeMode: 1
; LDSByteSize: 0 bytes/workgroup (compile time only)
; SGPRBlocks: 2
; VGPRBlocks: 0
; NumSGPRsForWavesPerEU: 20
; NumVGPRsForWavesPerEU: 5
; AccumOffset: 8
; Occupancy: 8
; WaveLimiterHint : 1
; COMPUTE_PGM_RSRC2:SCRATCH_EN: 0
; COMPUTE_PGM_RSRC2:USER_SGPR: 6
; COMPUTE_PGM_RSRC2:TRAP_HANDLER: 0
; COMPUTE_PGM_RSRC2:TGID_X_EN: 1
; COMPUTE_PGM_RSRC2:TGID_Y_EN: 0
; COMPUTE_PGM_RSRC2:TGID_Z_EN: 0
; COMPUTE_PGM_RSRC2:TIDIG_COMP_CNT: 0
; COMPUTE_PGM_RSRC3_GFX90A:ACCUM_OFFSET: 1
; COMPUTE_PGM_RSRC3_GFX90A:TG_SPLIT: 0
	.section	.text._ZN9rocsparseL25kernel_set_identity_arrayILj1024E21rocsparse_complex_numIdElEEvT1_PT0_,"axG",@progbits,_ZN9rocsparseL25kernel_set_identity_arrayILj1024E21rocsparse_complex_numIdElEEvT1_PT0_,comdat
	.globl	_ZN9rocsparseL25kernel_set_identity_arrayILj1024E21rocsparse_complex_numIdElEEvT1_PT0_ ; -- Begin function _ZN9rocsparseL25kernel_set_identity_arrayILj1024E21rocsparse_complex_numIdElEEvT1_PT0_
	.p2align	8
	.type	_ZN9rocsparseL25kernel_set_identity_arrayILj1024E21rocsparse_complex_numIdElEEvT1_PT0_,@function
_ZN9rocsparseL25kernel_set_identity_arrayILj1024E21rocsparse_complex_numIdElEEvT1_PT0_: ; @_ZN9rocsparseL25kernel_set_identity_arrayILj1024E21rocsparse_complex_numIdElEEvT1_PT0_
; %bb.0:
	s_load_dword s7, s[4:5], 0x1c
	s_load_dwordx4 s[0:3], s[4:5], 0x0
	v_mov_b32_e32 v3, 0
	s_waitcnt lgkmcnt(0)
	s_and_b32 s4, s7, 0xffff
	s_mul_i32 s6, s6, s4
	v_add_u32_e32 v2, s6, v0
	v_cmp_gt_i64_e32 vcc, s[0:1], v[2:3]
	s_and_saveexec_b64 s[0:1], vcc
	s_cbranch_execz .LBB51_2
; %bb.1:
	v_lshlrev_b64 v[0:1], 4, v[2:3]
	v_mov_b32_e32 v2, s3
	v_add_co_u32_e32 v4, vcc, s2, v0
	v_addc_co_u32_e32 v5, vcc, v2, v1, vcc
	v_mov_b32_e32 v1, 0x3ff00000
	v_mov_b32_e32 v0, v3
	;; [unrolled: 1-line block ×3, first 2 shown]
	global_store_dwordx4 v[4:5], v[0:3], off
.LBB51_2:
	s_endpgm
	.section	.rodata,"a",@progbits
	.p2align	6, 0x0
	.amdhsa_kernel _ZN9rocsparseL25kernel_set_identity_arrayILj1024E21rocsparse_complex_numIdElEEvT1_PT0_
		.amdhsa_group_segment_fixed_size 0
		.amdhsa_private_segment_fixed_size 0
		.amdhsa_kernarg_size 272
		.amdhsa_user_sgpr_count 6
		.amdhsa_user_sgpr_private_segment_buffer 1
		.amdhsa_user_sgpr_dispatch_ptr 0
		.amdhsa_user_sgpr_queue_ptr 0
		.amdhsa_user_sgpr_kernarg_segment_ptr 1
		.amdhsa_user_sgpr_dispatch_id 0
		.amdhsa_user_sgpr_flat_scratch_init 0
		.amdhsa_user_sgpr_kernarg_preload_length 0
		.amdhsa_user_sgpr_kernarg_preload_offset 0
		.amdhsa_user_sgpr_private_segment_size 0
		.amdhsa_uses_dynamic_stack 0
		.amdhsa_system_sgpr_private_segment_wavefront_offset 0
		.amdhsa_system_sgpr_workgroup_id_x 1
		.amdhsa_system_sgpr_workgroup_id_y 0
		.amdhsa_system_sgpr_workgroup_id_z 0
		.amdhsa_system_sgpr_workgroup_info 0
		.amdhsa_system_vgpr_workitem_id 0
		.amdhsa_next_free_vgpr 6
		.amdhsa_next_free_sgpr 8
		.amdhsa_accum_offset 8
		.amdhsa_reserve_vcc 1
		.amdhsa_reserve_flat_scratch 0
		.amdhsa_float_round_mode_32 0
		.amdhsa_float_round_mode_16_64 0
		.amdhsa_float_denorm_mode_32 3
		.amdhsa_float_denorm_mode_16_64 3
		.amdhsa_dx10_clamp 1
		.amdhsa_ieee_mode 1
		.amdhsa_fp16_overflow 0
		.amdhsa_tg_split 0
		.amdhsa_exception_fp_ieee_invalid_op 0
		.amdhsa_exception_fp_denorm_src 0
		.amdhsa_exception_fp_ieee_div_zero 0
		.amdhsa_exception_fp_ieee_overflow 0
		.amdhsa_exception_fp_ieee_underflow 0
		.amdhsa_exception_fp_ieee_inexact 0
		.amdhsa_exception_int_div_zero 0
	.end_amdhsa_kernel
	.section	.text._ZN9rocsparseL25kernel_set_identity_arrayILj1024E21rocsparse_complex_numIdElEEvT1_PT0_,"axG",@progbits,_ZN9rocsparseL25kernel_set_identity_arrayILj1024E21rocsparse_complex_numIdElEEvT1_PT0_,comdat
.Lfunc_end51:
	.size	_ZN9rocsparseL25kernel_set_identity_arrayILj1024E21rocsparse_complex_numIdElEEvT1_PT0_, .Lfunc_end51-_ZN9rocsparseL25kernel_set_identity_arrayILj1024E21rocsparse_complex_numIdElEEvT1_PT0_
                                        ; -- End function
	.section	.AMDGPU.csdata,"",@progbits
; Kernel info:
; codeLenInByte = 100
; NumSgprs: 12
; NumVgprs: 6
; NumAgprs: 0
; TotalNumVgprs: 6
; ScratchSize: 0
; MemoryBound: 0
; FloatMode: 240
; IeeeMode: 1
; LDSByteSize: 0 bytes/workgroup (compile time only)
; SGPRBlocks: 1
; VGPRBlocks: 0
; NumSGPRsForWavesPerEU: 12
; NumVGPRsForWavesPerEU: 6
; AccumOffset: 8
; Occupancy: 8
; WaveLimiterHint : 0
; COMPUTE_PGM_RSRC2:SCRATCH_EN: 0
; COMPUTE_PGM_RSRC2:USER_SGPR: 6
; COMPUTE_PGM_RSRC2:TRAP_HANDLER: 0
; COMPUTE_PGM_RSRC2:TGID_X_EN: 1
; COMPUTE_PGM_RSRC2:TGID_Y_EN: 0
; COMPUTE_PGM_RSRC2:TGID_Z_EN: 0
; COMPUTE_PGM_RSRC2:TIDIG_COMP_CNT: 0
; COMPUTE_PGM_RSRC3_GFX90A:ACCUM_OFFSET: 1
; COMPUTE_PGM_RSRC3_GFX90A:TG_SPLIT: 0
	.section	.text._ZN9rocsparseL25kernel_get_permuted_arrayILj1024E21rocsparse_complex_numIdElEEvT1_PKT0_PS4_PKS3_,"axG",@progbits,_ZN9rocsparseL25kernel_get_permuted_arrayILj1024E21rocsparse_complex_numIdElEEvT1_PKT0_PS4_PKS3_,comdat
	.globl	_ZN9rocsparseL25kernel_get_permuted_arrayILj1024E21rocsparse_complex_numIdElEEvT1_PKT0_PS4_PKS3_ ; -- Begin function _ZN9rocsparseL25kernel_get_permuted_arrayILj1024E21rocsparse_complex_numIdElEEvT1_PKT0_PS4_PKS3_
	.p2align	8
	.type	_ZN9rocsparseL25kernel_get_permuted_arrayILj1024E21rocsparse_complex_numIdElEEvT1_PKT0_PS4_PKS3_,@function
_ZN9rocsparseL25kernel_get_permuted_arrayILj1024E21rocsparse_complex_numIdElEEvT1_PKT0_PS4_PKS3_: ; @_ZN9rocsparseL25kernel_get_permuted_arrayILj1024E21rocsparse_complex_numIdElEEvT1_PKT0_PS4_PKS3_
; %bb.0:
	s_load_dword s0, s[4:5], 0x2c
	s_load_dwordx8 s[8:15], s[4:5], 0x0
	v_mov_b32_e32 v1, 0
	s_waitcnt lgkmcnt(0)
	s_and_b32 s0, s0, 0xffff
	s_mul_i32 s6, s6, s0
	v_add_u32_e32 v0, s6, v0
	v_cmp_gt_i64_e32 vcc, s[8:9], v[0:1]
	s_and_saveexec_b64 s[0:1], vcc
	s_cbranch_execz .LBB52_2
; %bb.1:
	v_lshlrev_b64 v[2:3], 3, v[0:1]
	v_mov_b32_e32 v4, s15
	v_add_co_u32_e32 v2, vcc, s14, v2
	v_addc_co_u32_e32 v3, vcc, v4, v3, vcc
	global_load_dwordx2 v[2:3], v[2:3], off
	v_mov_b32_e32 v4, s11
	v_lshlrev_b64 v[0:1], 4, v[0:1]
	v_mov_b32_e32 v6, s13
	s_waitcnt vmcnt(0)
	v_lshlrev_b64 v[2:3], 4, v[2:3]
	v_add_co_u32_e32 v2, vcc, s10, v2
	v_addc_co_u32_e32 v3, vcc, v4, v3, vcc
	global_load_dwordx4 v[2:5], v[2:3], off
	v_add_co_u32_e32 v0, vcc, s12, v0
	v_addc_co_u32_e32 v1, vcc, v6, v1, vcc
	s_waitcnt vmcnt(0)
	global_store_dwordx4 v[0:1], v[2:5], off
.LBB52_2:
	s_endpgm
	.section	.rodata,"a",@progbits
	.p2align	6, 0x0
	.amdhsa_kernel _ZN9rocsparseL25kernel_get_permuted_arrayILj1024E21rocsparse_complex_numIdElEEvT1_PKT0_PS4_PKS3_
		.amdhsa_group_segment_fixed_size 0
		.amdhsa_private_segment_fixed_size 0
		.amdhsa_kernarg_size 288
		.amdhsa_user_sgpr_count 6
		.amdhsa_user_sgpr_private_segment_buffer 1
		.amdhsa_user_sgpr_dispatch_ptr 0
		.amdhsa_user_sgpr_queue_ptr 0
		.amdhsa_user_sgpr_kernarg_segment_ptr 1
		.amdhsa_user_sgpr_dispatch_id 0
		.amdhsa_user_sgpr_flat_scratch_init 0
		.amdhsa_user_sgpr_kernarg_preload_length 0
		.amdhsa_user_sgpr_kernarg_preload_offset 0
		.amdhsa_user_sgpr_private_segment_size 0
		.amdhsa_uses_dynamic_stack 0
		.amdhsa_system_sgpr_private_segment_wavefront_offset 0
		.amdhsa_system_sgpr_workgroup_id_x 1
		.amdhsa_system_sgpr_workgroup_id_y 0
		.amdhsa_system_sgpr_workgroup_id_z 0
		.amdhsa_system_sgpr_workgroup_info 0
		.amdhsa_system_vgpr_workitem_id 0
		.amdhsa_next_free_vgpr 7
		.amdhsa_next_free_sgpr 16
		.amdhsa_accum_offset 8
		.amdhsa_reserve_vcc 1
		.amdhsa_reserve_flat_scratch 0
		.amdhsa_float_round_mode_32 0
		.amdhsa_float_round_mode_16_64 0
		.amdhsa_float_denorm_mode_32 3
		.amdhsa_float_denorm_mode_16_64 3
		.amdhsa_dx10_clamp 1
		.amdhsa_ieee_mode 1
		.amdhsa_fp16_overflow 0
		.amdhsa_tg_split 0
		.amdhsa_exception_fp_ieee_invalid_op 0
		.amdhsa_exception_fp_denorm_src 0
		.amdhsa_exception_fp_ieee_div_zero 0
		.amdhsa_exception_fp_ieee_overflow 0
		.amdhsa_exception_fp_ieee_underflow 0
		.amdhsa_exception_fp_ieee_inexact 0
		.amdhsa_exception_int_div_zero 0
	.end_amdhsa_kernel
	.section	.text._ZN9rocsparseL25kernel_get_permuted_arrayILj1024E21rocsparse_complex_numIdElEEvT1_PKT0_PS4_PKS3_,"axG",@progbits,_ZN9rocsparseL25kernel_get_permuted_arrayILj1024E21rocsparse_complex_numIdElEEvT1_PKT0_PS4_PKS3_,comdat
.Lfunc_end52:
	.size	_ZN9rocsparseL25kernel_get_permuted_arrayILj1024E21rocsparse_complex_numIdElEEvT1_PKT0_PS4_PKS3_, .Lfunc_end52-_ZN9rocsparseL25kernel_get_permuted_arrayILj1024E21rocsparse_complex_numIdElEEvT1_PKT0_PS4_PKS3_
                                        ; -- End function
	.section	.AMDGPU.csdata,"",@progbits
; Kernel info:
; codeLenInByte = 148
; NumSgprs: 20
; NumVgprs: 7
; NumAgprs: 0
; TotalNumVgprs: 7
; ScratchSize: 0
; MemoryBound: 0
; FloatMode: 240
; IeeeMode: 1
; LDSByteSize: 0 bytes/workgroup (compile time only)
; SGPRBlocks: 2
; VGPRBlocks: 0
; NumSGPRsForWavesPerEU: 20
; NumVGPRsForWavesPerEU: 7
; AccumOffset: 8
; Occupancy: 8
; WaveLimiterHint : 0
; COMPUTE_PGM_RSRC2:SCRATCH_EN: 0
; COMPUTE_PGM_RSRC2:USER_SGPR: 6
; COMPUTE_PGM_RSRC2:TRAP_HANDLER: 0
; COMPUTE_PGM_RSRC2:TGID_X_EN: 1
; COMPUTE_PGM_RSRC2:TGID_Y_EN: 0
; COMPUTE_PGM_RSRC2:TGID_Z_EN: 0
; COMPUTE_PGM_RSRC2:TIDIG_COMP_CNT: 0
; COMPUTE_PGM_RSRC3_GFX90A:ACCUM_OFFSET: 1
; COMPUTE_PGM_RSRC3_GFX90A:TG_SPLIT: 0
	.section	.text._ZN9rocsparseL25kernel_set_permuted_arrayILj1024E21rocsparse_complex_numIdElEEvT1_PT0_PKS4_PKS3_,"axG",@progbits,_ZN9rocsparseL25kernel_set_permuted_arrayILj1024E21rocsparse_complex_numIdElEEvT1_PT0_PKS4_PKS3_,comdat
	.globl	_ZN9rocsparseL25kernel_set_permuted_arrayILj1024E21rocsparse_complex_numIdElEEvT1_PT0_PKS4_PKS3_ ; -- Begin function _ZN9rocsparseL25kernel_set_permuted_arrayILj1024E21rocsparse_complex_numIdElEEvT1_PT0_PKS4_PKS3_
	.p2align	8
	.type	_ZN9rocsparseL25kernel_set_permuted_arrayILj1024E21rocsparse_complex_numIdElEEvT1_PT0_PKS4_PKS3_,@function
_ZN9rocsparseL25kernel_set_permuted_arrayILj1024E21rocsparse_complex_numIdElEEvT1_PT0_PKS4_PKS3_: ; @_ZN9rocsparseL25kernel_set_permuted_arrayILj1024E21rocsparse_complex_numIdElEEvT1_PT0_PKS4_PKS3_
; %bb.0:
	s_load_dword s0, s[4:5], 0x2c
	s_load_dwordx8 s[8:15], s[4:5], 0x0
	v_mov_b32_e32 v1, 0
	s_waitcnt lgkmcnt(0)
	s_and_b32 s0, s0, 0xffff
	s_mul_i32 s6, s6, s0
	v_add_u32_e32 v0, s6, v0
	v_cmp_gt_i64_e32 vcc, s[8:9], v[0:1]
	s_and_saveexec_b64 s[0:1], vcc
	s_cbranch_execz .LBB53_2
; %bb.1:
	v_lshlrev_b64 v[2:3], 3, v[0:1]
	v_mov_b32_e32 v4, s15
	v_add_co_u32_e32 v2, vcc, s14, v2
	v_addc_co_u32_e32 v3, vcc, v4, v3, vcc
	v_lshlrev_b64 v[0:1], 4, v[0:1]
	global_load_dwordx2 v[4:5], v[2:3], off
	v_mov_b32_e32 v6, s13
	v_add_co_u32_e32 v0, vcc, s12, v0
	v_addc_co_u32_e32 v1, vcc, v6, v1, vcc
	global_load_dwordx4 v[0:3], v[0:1], off
	v_mov_b32_e32 v6, s11
	s_waitcnt vmcnt(1)
	v_lshlrev_b64 v[4:5], 4, v[4:5]
	v_add_co_u32_e32 v4, vcc, s10, v4
	v_addc_co_u32_e32 v5, vcc, v6, v5, vcc
	s_waitcnt vmcnt(0)
	global_store_dwordx4 v[4:5], v[0:3], off
.LBB53_2:
	s_endpgm
	.section	.rodata,"a",@progbits
	.p2align	6, 0x0
	.amdhsa_kernel _ZN9rocsparseL25kernel_set_permuted_arrayILj1024E21rocsparse_complex_numIdElEEvT1_PT0_PKS4_PKS3_
		.amdhsa_group_segment_fixed_size 0
		.amdhsa_private_segment_fixed_size 0
		.amdhsa_kernarg_size 288
		.amdhsa_user_sgpr_count 6
		.amdhsa_user_sgpr_private_segment_buffer 1
		.amdhsa_user_sgpr_dispatch_ptr 0
		.amdhsa_user_sgpr_queue_ptr 0
		.amdhsa_user_sgpr_kernarg_segment_ptr 1
		.amdhsa_user_sgpr_dispatch_id 0
		.amdhsa_user_sgpr_flat_scratch_init 0
		.amdhsa_user_sgpr_kernarg_preload_length 0
		.amdhsa_user_sgpr_kernarg_preload_offset 0
		.amdhsa_user_sgpr_private_segment_size 0
		.amdhsa_uses_dynamic_stack 0
		.amdhsa_system_sgpr_private_segment_wavefront_offset 0
		.amdhsa_system_sgpr_workgroup_id_x 1
		.amdhsa_system_sgpr_workgroup_id_y 0
		.amdhsa_system_sgpr_workgroup_id_z 0
		.amdhsa_system_sgpr_workgroup_info 0
		.amdhsa_system_vgpr_workitem_id 0
		.amdhsa_next_free_vgpr 7
		.amdhsa_next_free_sgpr 16
		.amdhsa_accum_offset 8
		.amdhsa_reserve_vcc 1
		.amdhsa_reserve_flat_scratch 0
		.amdhsa_float_round_mode_32 0
		.amdhsa_float_round_mode_16_64 0
		.amdhsa_float_denorm_mode_32 3
		.amdhsa_float_denorm_mode_16_64 3
		.amdhsa_dx10_clamp 1
		.amdhsa_ieee_mode 1
		.amdhsa_fp16_overflow 0
		.amdhsa_tg_split 0
		.amdhsa_exception_fp_ieee_invalid_op 0
		.amdhsa_exception_fp_denorm_src 0
		.amdhsa_exception_fp_ieee_div_zero 0
		.amdhsa_exception_fp_ieee_overflow 0
		.amdhsa_exception_fp_ieee_underflow 0
		.amdhsa_exception_fp_ieee_inexact 0
		.amdhsa_exception_int_div_zero 0
	.end_amdhsa_kernel
	.section	.text._ZN9rocsparseL25kernel_set_permuted_arrayILj1024E21rocsparse_complex_numIdElEEvT1_PT0_PKS4_PKS3_,"axG",@progbits,_ZN9rocsparseL25kernel_set_permuted_arrayILj1024E21rocsparse_complex_numIdElEEvT1_PT0_PKS4_PKS3_,comdat
.Lfunc_end53:
	.size	_ZN9rocsparseL25kernel_set_permuted_arrayILj1024E21rocsparse_complex_numIdElEEvT1_PT0_PKS4_PKS3_, .Lfunc_end53-_ZN9rocsparseL25kernel_set_permuted_arrayILj1024E21rocsparse_complex_numIdElEEvT1_PT0_PKS4_PKS3_
                                        ; -- End function
	.section	.AMDGPU.csdata,"",@progbits
; Kernel info:
; codeLenInByte = 148
; NumSgprs: 20
; NumVgprs: 7
; NumAgprs: 0
; TotalNumVgprs: 7
; ScratchSize: 0
; MemoryBound: 0
; FloatMode: 240
; IeeeMode: 1
; LDSByteSize: 0 bytes/workgroup (compile time only)
; SGPRBlocks: 2
; VGPRBlocks: 0
; NumSGPRsForWavesPerEU: 20
; NumVGPRsForWavesPerEU: 7
; AccumOffset: 8
; Occupancy: 8
; WaveLimiterHint : 1
; COMPUTE_PGM_RSRC2:SCRATCH_EN: 0
; COMPUTE_PGM_RSRC2:USER_SGPR: 6
; COMPUTE_PGM_RSRC2:TRAP_HANDLER: 0
; COMPUTE_PGM_RSRC2:TGID_X_EN: 1
; COMPUTE_PGM_RSRC2:TGID_Y_EN: 0
; COMPUTE_PGM_RSRC2:TGID_Z_EN: 0
; COMPUTE_PGM_RSRC2:TIDIG_COMP_CNT: 0
; COMPUTE_PGM_RSRC3_GFX90A:ACCUM_OFFSET: 1
; COMPUTE_PGM_RSRC3_GFX90A:TG_SPLIT: 0
	.section	.text._ZN9rocsparseL25kernel_set_identity_arrayILj256EflEEvT1_PT0_,"axG",@progbits,_ZN9rocsparseL25kernel_set_identity_arrayILj256EflEEvT1_PT0_,comdat
	.globl	_ZN9rocsparseL25kernel_set_identity_arrayILj256EflEEvT1_PT0_ ; -- Begin function _ZN9rocsparseL25kernel_set_identity_arrayILj256EflEEvT1_PT0_
	.p2align	8
	.type	_ZN9rocsparseL25kernel_set_identity_arrayILj256EflEEvT1_PT0_,@function
_ZN9rocsparseL25kernel_set_identity_arrayILj256EflEEvT1_PT0_: ; @_ZN9rocsparseL25kernel_set_identity_arrayILj256EflEEvT1_PT0_
; %bb.0:
	s_load_dword s7, s[4:5], 0x1c
	s_load_dwordx4 s[0:3], s[4:5], 0x0
	v_mov_b32_e32 v1, 0
	s_waitcnt lgkmcnt(0)
	s_and_b32 s4, s7, 0xffff
	s_mul_i32 s6, s6, s4
	v_add_u32_e32 v0, s6, v0
	v_cmp_gt_i64_e32 vcc, s[0:1], v[0:1]
	s_and_saveexec_b64 s[0:1], vcc
	s_cbranch_execz .LBB54_2
; %bb.1:
	v_lshlrev_b64 v[0:1], 2, v[0:1]
	v_mov_b32_e32 v2, s3
	v_add_co_u32_e32 v0, vcc, s2, v0
	v_addc_co_u32_e32 v1, vcc, v2, v1, vcc
	v_mov_b32_e32 v2, 1.0
	global_store_dword v[0:1], v2, off
.LBB54_2:
	s_endpgm
	.section	.rodata,"a",@progbits
	.p2align	6, 0x0
	.amdhsa_kernel _ZN9rocsparseL25kernel_set_identity_arrayILj256EflEEvT1_PT0_
		.amdhsa_group_segment_fixed_size 0
		.amdhsa_private_segment_fixed_size 0
		.amdhsa_kernarg_size 272
		.amdhsa_user_sgpr_count 6
		.amdhsa_user_sgpr_private_segment_buffer 1
		.amdhsa_user_sgpr_dispatch_ptr 0
		.amdhsa_user_sgpr_queue_ptr 0
		.amdhsa_user_sgpr_kernarg_segment_ptr 1
		.amdhsa_user_sgpr_dispatch_id 0
		.amdhsa_user_sgpr_flat_scratch_init 0
		.amdhsa_user_sgpr_kernarg_preload_length 0
		.amdhsa_user_sgpr_kernarg_preload_offset 0
		.amdhsa_user_sgpr_private_segment_size 0
		.amdhsa_uses_dynamic_stack 0
		.amdhsa_system_sgpr_private_segment_wavefront_offset 0
		.amdhsa_system_sgpr_workgroup_id_x 1
		.amdhsa_system_sgpr_workgroup_id_y 0
		.amdhsa_system_sgpr_workgroup_id_z 0
		.amdhsa_system_sgpr_workgroup_info 0
		.amdhsa_system_vgpr_workitem_id 0
		.amdhsa_next_free_vgpr 3
		.amdhsa_next_free_sgpr 8
		.amdhsa_accum_offset 4
		.amdhsa_reserve_vcc 1
		.amdhsa_reserve_flat_scratch 0
		.amdhsa_float_round_mode_32 0
		.amdhsa_float_round_mode_16_64 0
		.amdhsa_float_denorm_mode_32 3
		.amdhsa_float_denorm_mode_16_64 3
		.amdhsa_dx10_clamp 1
		.amdhsa_ieee_mode 1
		.amdhsa_fp16_overflow 0
		.amdhsa_tg_split 0
		.amdhsa_exception_fp_ieee_invalid_op 0
		.amdhsa_exception_fp_denorm_src 0
		.amdhsa_exception_fp_ieee_div_zero 0
		.amdhsa_exception_fp_ieee_overflow 0
		.amdhsa_exception_fp_ieee_underflow 0
		.amdhsa_exception_fp_ieee_inexact 0
		.amdhsa_exception_int_div_zero 0
	.end_amdhsa_kernel
	.section	.text._ZN9rocsparseL25kernel_set_identity_arrayILj256EflEEvT1_PT0_,"axG",@progbits,_ZN9rocsparseL25kernel_set_identity_arrayILj256EflEEvT1_PT0_,comdat
.Lfunc_end54:
	.size	_ZN9rocsparseL25kernel_set_identity_arrayILj256EflEEvT1_PT0_, .Lfunc_end54-_ZN9rocsparseL25kernel_set_identity_arrayILj256EflEEvT1_PT0_
                                        ; -- End function
	.section	.AMDGPU.csdata,"",@progbits
; Kernel info:
; codeLenInByte = 88
; NumSgprs: 12
; NumVgprs: 3
; NumAgprs: 0
; TotalNumVgprs: 3
; ScratchSize: 0
; MemoryBound: 0
; FloatMode: 240
; IeeeMode: 1
; LDSByteSize: 0 bytes/workgroup (compile time only)
; SGPRBlocks: 1
; VGPRBlocks: 0
; NumSGPRsForWavesPerEU: 12
; NumVGPRsForWavesPerEU: 3
; AccumOffset: 4
; Occupancy: 8
; WaveLimiterHint : 0
; COMPUTE_PGM_RSRC2:SCRATCH_EN: 0
; COMPUTE_PGM_RSRC2:USER_SGPR: 6
; COMPUTE_PGM_RSRC2:TRAP_HANDLER: 0
; COMPUTE_PGM_RSRC2:TGID_X_EN: 1
; COMPUTE_PGM_RSRC2:TGID_Y_EN: 0
; COMPUTE_PGM_RSRC2:TGID_Z_EN: 0
; COMPUTE_PGM_RSRC2:TIDIG_COMP_CNT: 0
; COMPUTE_PGM_RSRC3_GFX90A:ACCUM_OFFSET: 0
; COMPUTE_PGM_RSRC3_GFX90A:TG_SPLIT: 0
	.section	.text._ZN9rocsparseL25kernel_get_permuted_arrayILj256EflEEvT1_PKT0_PS2_PKS1_,"axG",@progbits,_ZN9rocsparseL25kernel_get_permuted_arrayILj256EflEEvT1_PKT0_PS2_PKS1_,comdat
	.globl	_ZN9rocsparseL25kernel_get_permuted_arrayILj256EflEEvT1_PKT0_PS2_PKS1_ ; -- Begin function _ZN9rocsparseL25kernel_get_permuted_arrayILj256EflEEvT1_PKT0_PS2_PKS1_
	.p2align	8
	.type	_ZN9rocsparseL25kernel_get_permuted_arrayILj256EflEEvT1_PKT0_PS2_PKS1_,@function
_ZN9rocsparseL25kernel_get_permuted_arrayILj256EflEEvT1_PKT0_PS2_PKS1_: ; @_ZN9rocsparseL25kernel_get_permuted_arrayILj256EflEEvT1_PKT0_PS2_PKS1_
; %bb.0:
	s_load_dword s0, s[4:5], 0x2c
	s_load_dwordx8 s[8:15], s[4:5], 0x0
	v_mov_b32_e32 v1, 0
	s_waitcnt lgkmcnt(0)
	s_and_b32 s0, s0, 0xffff
	s_mul_i32 s6, s6, s0
	v_add_u32_e32 v0, s6, v0
	v_cmp_gt_i64_e32 vcc, s[8:9], v[0:1]
	s_and_saveexec_b64 s[0:1], vcc
	s_cbranch_execz .LBB55_2
; %bb.1:
	v_lshlrev_b64 v[2:3], 3, v[0:1]
	v_mov_b32_e32 v4, s15
	v_add_co_u32_e32 v2, vcc, s14, v2
	v_addc_co_u32_e32 v3, vcc, v4, v3, vcc
	global_load_dwordx2 v[2:3], v[2:3], off
	v_mov_b32_e32 v4, s11
	v_lshlrev_b64 v[0:1], 2, v[0:1]
	s_waitcnt vmcnt(0)
	v_lshlrev_b64 v[2:3], 2, v[2:3]
	v_add_co_u32_e32 v2, vcc, s10, v2
	v_addc_co_u32_e32 v3, vcc, v4, v3, vcc
	global_load_dword v2, v[2:3], off
	v_mov_b32_e32 v3, s13
	v_add_co_u32_e32 v0, vcc, s12, v0
	v_addc_co_u32_e32 v1, vcc, v3, v1, vcc
	s_waitcnt vmcnt(0)
	global_store_dword v[0:1], v2, off
.LBB55_2:
	s_endpgm
	.section	.rodata,"a",@progbits
	.p2align	6, 0x0
	.amdhsa_kernel _ZN9rocsparseL25kernel_get_permuted_arrayILj256EflEEvT1_PKT0_PS2_PKS1_
		.amdhsa_group_segment_fixed_size 0
		.amdhsa_private_segment_fixed_size 0
		.amdhsa_kernarg_size 288
		.amdhsa_user_sgpr_count 6
		.amdhsa_user_sgpr_private_segment_buffer 1
		.amdhsa_user_sgpr_dispatch_ptr 0
		.amdhsa_user_sgpr_queue_ptr 0
		.amdhsa_user_sgpr_kernarg_segment_ptr 1
		.amdhsa_user_sgpr_dispatch_id 0
		.amdhsa_user_sgpr_flat_scratch_init 0
		.amdhsa_user_sgpr_kernarg_preload_length 0
		.amdhsa_user_sgpr_kernarg_preload_offset 0
		.amdhsa_user_sgpr_private_segment_size 0
		.amdhsa_uses_dynamic_stack 0
		.amdhsa_system_sgpr_private_segment_wavefront_offset 0
		.amdhsa_system_sgpr_workgroup_id_x 1
		.amdhsa_system_sgpr_workgroup_id_y 0
		.amdhsa_system_sgpr_workgroup_id_z 0
		.amdhsa_system_sgpr_workgroup_info 0
		.amdhsa_system_vgpr_workitem_id 0
		.amdhsa_next_free_vgpr 5
		.amdhsa_next_free_sgpr 16
		.amdhsa_accum_offset 8
		.amdhsa_reserve_vcc 1
		.amdhsa_reserve_flat_scratch 0
		.amdhsa_float_round_mode_32 0
		.amdhsa_float_round_mode_16_64 0
		.amdhsa_float_denorm_mode_32 3
		.amdhsa_float_denorm_mode_16_64 3
		.amdhsa_dx10_clamp 1
		.amdhsa_ieee_mode 1
		.amdhsa_fp16_overflow 0
		.amdhsa_tg_split 0
		.amdhsa_exception_fp_ieee_invalid_op 0
		.amdhsa_exception_fp_denorm_src 0
		.amdhsa_exception_fp_ieee_div_zero 0
		.amdhsa_exception_fp_ieee_overflow 0
		.amdhsa_exception_fp_ieee_underflow 0
		.amdhsa_exception_fp_ieee_inexact 0
		.amdhsa_exception_int_div_zero 0
	.end_amdhsa_kernel
	.section	.text._ZN9rocsparseL25kernel_get_permuted_arrayILj256EflEEvT1_PKT0_PS2_PKS1_,"axG",@progbits,_ZN9rocsparseL25kernel_get_permuted_arrayILj256EflEEvT1_PKT0_PS2_PKS1_,comdat
.Lfunc_end55:
	.size	_ZN9rocsparseL25kernel_get_permuted_arrayILj256EflEEvT1_PKT0_PS2_PKS1_, .Lfunc_end55-_ZN9rocsparseL25kernel_get_permuted_arrayILj256EflEEvT1_PKT0_PS2_PKS1_
                                        ; -- End function
	.section	.AMDGPU.csdata,"",@progbits
; Kernel info:
; codeLenInByte = 148
; NumSgprs: 20
; NumVgprs: 5
; NumAgprs: 0
; TotalNumVgprs: 5
; ScratchSize: 0
; MemoryBound: 0
; FloatMode: 240
; IeeeMode: 1
; LDSByteSize: 0 bytes/workgroup (compile time only)
; SGPRBlocks: 2
; VGPRBlocks: 0
; NumSGPRsForWavesPerEU: 20
; NumVGPRsForWavesPerEU: 5
; AccumOffset: 8
; Occupancy: 8
; WaveLimiterHint : 1
; COMPUTE_PGM_RSRC2:SCRATCH_EN: 0
; COMPUTE_PGM_RSRC2:USER_SGPR: 6
; COMPUTE_PGM_RSRC2:TRAP_HANDLER: 0
; COMPUTE_PGM_RSRC2:TGID_X_EN: 1
; COMPUTE_PGM_RSRC2:TGID_Y_EN: 0
; COMPUTE_PGM_RSRC2:TGID_Z_EN: 0
; COMPUTE_PGM_RSRC2:TIDIG_COMP_CNT: 0
; COMPUTE_PGM_RSRC3_GFX90A:ACCUM_OFFSET: 1
; COMPUTE_PGM_RSRC3_GFX90A:TG_SPLIT: 0
	.section	.text._ZN9rocsparseL25kernel_set_permuted_arrayILj256EflEEvT1_PT0_PKS2_PKS1_,"axG",@progbits,_ZN9rocsparseL25kernel_set_permuted_arrayILj256EflEEvT1_PT0_PKS2_PKS1_,comdat
	.globl	_ZN9rocsparseL25kernel_set_permuted_arrayILj256EflEEvT1_PT0_PKS2_PKS1_ ; -- Begin function _ZN9rocsparseL25kernel_set_permuted_arrayILj256EflEEvT1_PT0_PKS2_PKS1_
	.p2align	8
	.type	_ZN9rocsparseL25kernel_set_permuted_arrayILj256EflEEvT1_PT0_PKS2_PKS1_,@function
_ZN9rocsparseL25kernel_set_permuted_arrayILj256EflEEvT1_PT0_PKS2_PKS1_: ; @_ZN9rocsparseL25kernel_set_permuted_arrayILj256EflEEvT1_PT0_PKS2_PKS1_
; %bb.0:
	s_load_dword s0, s[4:5], 0x2c
	s_load_dwordx8 s[8:15], s[4:5], 0x0
	v_mov_b32_e32 v1, 0
	s_waitcnt lgkmcnt(0)
	s_and_b32 s0, s0, 0xffff
	s_mul_i32 s6, s6, s0
	v_add_u32_e32 v0, s6, v0
	v_cmp_gt_i64_e32 vcc, s[8:9], v[0:1]
	s_and_saveexec_b64 s[0:1], vcc
	s_cbranch_execz .LBB56_2
; %bb.1:
	v_lshlrev_b64 v[2:3], 3, v[0:1]
	v_mov_b32_e32 v4, s15
	v_add_co_u32_e32 v2, vcc, s14, v2
	v_addc_co_u32_e32 v3, vcc, v4, v3, vcc
	v_lshlrev_b64 v[0:1], 2, v[0:1]
	global_load_dwordx2 v[2:3], v[2:3], off
	v_mov_b32_e32 v4, s13
	v_add_co_u32_e32 v0, vcc, s12, v0
	v_addc_co_u32_e32 v1, vcc, v4, v1, vcc
	global_load_dword v4, v[0:1], off
	v_mov_b32_e32 v5, s11
	s_waitcnt vmcnt(1)
	v_lshlrev_b64 v[0:1], 2, v[2:3]
	v_add_co_u32_e32 v0, vcc, s10, v0
	v_addc_co_u32_e32 v1, vcc, v5, v1, vcc
	s_waitcnt vmcnt(0)
	global_store_dword v[0:1], v4, off
.LBB56_2:
	s_endpgm
	.section	.rodata,"a",@progbits
	.p2align	6, 0x0
	.amdhsa_kernel _ZN9rocsparseL25kernel_set_permuted_arrayILj256EflEEvT1_PT0_PKS2_PKS1_
		.amdhsa_group_segment_fixed_size 0
		.amdhsa_private_segment_fixed_size 0
		.amdhsa_kernarg_size 288
		.amdhsa_user_sgpr_count 6
		.amdhsa_user_sgpr_private_segment_buffer 1
		.amdhsa_user_sgpr_dispatch_ptr 0
		.amdhsa_user_sgpr_queue_ptr 0
		.amdhsa_user_sgpr_kernarg_segment_ptr 1
		.amdhsa_user_sgpr_dispatch_id 0
		.amdhsa_user_sgpr_flat_scratch_init 0
		.amdhsa_user_sgpr_kernarg_preload_length 0
		.amdhsa_user_sgpr_kernarg_preload_offset 0
		.amdhsa_user_sgpr_private_segment_size 0
		.amdhsa_uses_dynamic_stack 0
		.amdhsa_system_sgpr_private_segment_wavefront_offset 0
		.amdhsa_system_sgpr_workgroup_id_x 1
		.amdhsa_system_sgpr_workgroup_id_y 0
		.amdhsa_system_sgpr_workgroup_id_z 0
		.amdhsa_system_sgpr_workgroup_info 0
		.amdhsa_system_vgpr_workitem_id 0
		.amdhsa_next_free_vgpr 6
		.amdhsa_next_free_sgpr 16
		.amdhsa_accum_offset 8
		.amdhsa_reserve_vcc 1
		.amdhsa_reserve_flat_scratch 0
		.amdhsa_float_round_mode_32 0
		.amdhsa_float_round_mode_16_64 0
		.amdhsa_float_denorm_mode_32 3
		.amdhsa_float_denorm_mode_16_64 3
		.amdhsa_dx10_clamp 1
		.amdhsa_ieee_mode 1
		.amdhsa_fp16_overflow 0
		.amdhsa_tg_split 0
		.amdhsa_exception_fp_ieee_invalid_op 0
		.amdhsa_exception_fp_denorm_src 0
		.amdhsa_exception_fp_ieee_div_zero 0
		.amdhsa_exception_fp_ieee_overflow 0
		.amdhsa_exception_fp_ieee_underflow 0
		.amdhsa_exception_fp_ieee_inexact 0
		.amdhsa_exception_int_div_zero 0
	.end_amdhsa_kernel
	.section	.text._ZN9rocsparseL25kernel_set_permuted_arrayILj256EflEEvT1_PT0_PKS2_PKS1_,"axG",@progbits,_ZN9rocsparseL25kernel_set_permuted_arrayILj256EflEEvT1_PT0_PKS2_PKS1_,comdat
.Lfunc_end56:
	.size	_ZN9rocsparseL25kernel_set_permuted_arrayILj256EflEEvT1_PT0_PKS2_PKS1_, .Lfunc_end56-_ZN9rocsparseL25kernel_set_permuted_arrayILj256EflEEvT1_PT0_PKS2_PKS1_
                                        ; -- End function
	.section	.AMDGPU.csdata,"",@progbits
; Kernel info:
; codeLenInByte = 148
; NumSgprs: 20
; NumVgprs: 6
; NumAgprs: 0
; TotalNumVgprs: 6
; ScratchSize: 0
; MemoryBound: 0
; FloatMode: 240
; IeeeMode: 1
; LDSByteSize: 0 bytes/workgroup (compile time only)
; SGPRBlocks: 2
; VGPRBlocks: 0
; NumSGPRsForWavesPerEU: 20
; NumVGPRsForWavesPerEU: 6
; AccumOffset: 8
; Occupancy: 8
; WaveLimiterHint : 1
; COMPUTE_PGM_RSRC2:SCRATCH_EN: 0
; COMPUTE_PGM_RSRC2:USER_SGPR: 6
; COMPUTE_PGM_RSRC2:TRAP_HANDLER: 0
; COMPUTE_PGM_RSRC2:TGID_X_EN: 1
; COMPUTE_PGM_RSRC2:TGID_Y_EN: 0
; COMPUTE_PGM_RSRC2:TGID_Z_EN: 0
; COMPUTE_PGM_RSRC2:TIDIG_COMP_CNT: 0
; COMPUTE_PGM_RSRC3_GFX90A:ACCUM_OFFSET: 1
; COMPUTE_PGM_RSRC3_GFX90A:TG_SPLIT: 0
	.section	.text._ZN9rocsparseL25kernel_set_identity_arrayILj256EdlEEvT1_PT0_,"axG",@progbits,_ZN9rocsparseL25kernel_set_identity_arrayILj256EdlEEvT1_PT0_,comdat
	.globl	_ZN9rocsparseL25kernel_set_identity_arrayILj256EdlEEvT1_PT0_ ; -- Begin function _ZN9rocsparseL25kernel_set_identity_arrayILj256EdlEEvT1_PT0_
	.p2align	8
	.type	_ZN9rocsparseL25kernel_set_identity_arrayILj256EdlEEvT1_PT0_,@function
_ZN9rocsparseL25kernel_set_identity_arrayILj256EdlEEvT1_PT0_: ; @_ZN9rocsparseL25kernel_set_identity_arrayILj256EdlEEvT1_PT0_
; %bb.0:
	s_load_dword s7, s[4:5], 0x1c
	s_load_dwordx4 s[0:3], s[4:5], 0x0
	v_mov_b32_e32 v1, 0
	s_waitcnt lgkmcnt(0)
	s_and_b32 s4, s7, 0xffff
	s_mul_i32 s6, s6, s4
	v_add_u32_e32 v0, s6, v0
	v_cmp_gt_i64_e32 vcc, s[0:1], v[0:1]
	s_and_saveexec_b64 s[0:1], vcc
	s_cbranch_execz .LBB57_2
; %bb.1:
	v_lshlrev_b64 v[2:3], 3, v[0:1]
	v_mov_b32_e32 v0, s3
	v_add_co_u32_e32 v2, vcc, s2, v2
	v_addc_co_u32_e32 v3, vcc, v0, v3, vcc
	v_mov_b32_e32 v5, 0x3ff00000
	v_mov_b32_e32 v4, v1
	global_store_dwordx2 v[2:3], v[4:5], off
.LBB57_2:
	s_endpgm
	.section	.rodata,"a",@progbits
	.p2align	6, 0x0
	.amdhsa_kernel _ZN9rocsparseL25kernel_set_identity_arrayILj256EdlEEvT1_PT0_
		.amdhsa_group_segment_fixed_size 0
		.amdhsa_private_segment_fixed_size 0
		.amdhsa_kernarg_size 272
		.amdhsa_user_sgpr_count 6
		.amdhsa_user_sgpr_private_segment_buffer 1
		.amdhsa_user_sgpr_dispatch_ptr 0
		.amdhsa_user_sgpr_queue_ptr 0
		.amdhsa_user_sgpr_kernarg_segment_ptr 1
		.amdhsa_user_sgpr_dispatch_id 0
		.amdhsa_user_sgpr_flat_scratch_init 0
		.amdhsa_user_sgpr_kernarg_preload_length 0
		.amdhsa_user_sgpr_kernarg_preload_offset 0
		.amdhsa_user_sgpr_private_segment_size 0
		.amdhsa_uses_dynamic_stack 0
		.amdhsa_system_sgpr_private_segment_wavefront_offset 0
		.amdhsa_system_sgpr_workgroup_id_x 1
		.amdhsa_system_sgpr_workgroup_id_y 0
		.amdhsa_system_sgpr_workgroup_id_z 0
		.amdhsa_system_sgpr_workgroup_info 0
		.amdhsa_system_vgpr_workitem_id 0
		.amdhsa_next_free_vgpr 6
		.amdhsa_next_free_sgpr 8
		.amdhsa_accum_offset 8
		.amdhsa_reserve_vcc 1
		.amdhsa_reserve_flat_scratch 0
		.amdhsa_float_round_mode_32 0
		.amdhsa_float_round_mode_16_64 0
		.amdhsa_float_denorm_mode_32 3
		.amdhsa_float_denorm_mode_16_64 3
		.amdhsa_dx10_clamp 1
		.amdhsa_ieee_mode 1
		.amdhsa_fp16_overflow 0
		.amdhsa_tg_split 0
		.amdhsa_exception_fp_ieee_invalid_op 0
		.amdhsa_exception_fp_denorm_src 0
		.amdhsa_exception_fp_ieee_div_zero 0
		.amdhsa_exception_fp_ieee_overflow 0
		.amdhsa_exception_fp_ieee_underflow 0
		.amdhsa_exception_fp_ieee_inexact 0
		.amdhsa_exception_int_div_zero 0
	.end_amdhsa_kernel
	.section	.text._ZN9rocsparseL25kernel_set_identity_arrayILj256EdlEEvT1_PT0_,"axG",@progbits,_ZN9rocsparseL25kernel_set_identity_arrayILj256EdlEEvT1_PT0_,comdat
.Lfunc_end57:
	.size	_ZN9rocsparseL25kernel_set_identity_arrayILj256EdlEEvT1_PT0_, .Lfunc_end57-_ZN9rocsparseL25kernel_set_identity_arrayILj256EdlEEvT1_PT0_
                                        ; -- End function
	.section	.AMDGPU.csdata,"",@progbits
; Kernel info:
; codeLenInByte = 96
; NumSgprs: 12
; NumVgprs: 6
; NumAgprs: 0
; TotalNumVgprs: 6
; ScratchSize: 0
; MemoryBound: 0
; FloatMode: 240
; IeeeMode: 1
; LDSByteSize: 0 bytes/workgroup (compile time only)
; SGPRBlocks: 1
; VGPRBlocks: 0
; NumSGPRsForWavesPerEU: 12
; NumVGPRsForWavesPerEU: 6
; AccumOffset: 8
; Occupancy: 8
; WaveLimiterHint : 0
; COMPUTE_PGM_RSRC2:SCRATCH_EN: 0
; COMPUTE_PGM_RSRC2:USER_SGPR: 6
; COMPUTE_PGM_RSRC2:TRAP_HANDLER: 0
; COMPUTE_PGM_RSRC2:TGID_X_EN: 1
; COMPUTE_PGM_RSRC2:TGID_Y_EN: 0
; COMPUTE_PGM_RSRC2:TGID_Z_EN: 0
; COMPUTE_PGM_RSRC2:TIDIG_COMP_CNT: 0
; COMPUTE_PGM_RSRC3_GFX90A:ACCUM_OFFSET: 1
; COMPUTE_PGM_RSRC3_GFX90A:TG_SPLIT: 0
	.section	.text._ZN9rocsparseL25kernel_get_permuted_arrayILj256EdlEEvT1_PKT0_PS2_PKS1_,"axG",@progbits,_ZN9rocsparseL25kernel_get_permuted_arrayILj256EdlEEvT1_PKT0_PS2_PKS1_,comdat
	.globl	_ZN9rocsparseL25kernel_get_permuted_arrayILj256EdlEEvT1_PKT0_PS2_PKS1_ ; -- Begin function _ZN9rocsparseL25kernel_get_permuted_arrayILj256EdlEEvT1_PKT0_PS2_PKS1_
	.p2align	8
	.type	_ZN9rocsparseL25kernel_get_permuted_arrayILj256EdlEEvT1_PKT0_PS2_PKS1_,@function
_ZN9rocsparseL25kernel_get_permuted_arrayILj256EdlEEvT1_PKT0_PS2_PKS1_: ; @_ZN9rocsparseL25kernel_get_permuted_arrayILj256EdlEEvT1_PKT0_PS2_PKS1_
; %bb.0:
	s_load_dword s0, s[4:5], 0x2c
	s_load_dwordx8 s[8:15], s[4:5], 0x0
	v_mov_b32_e32 v1, 0
	s_waitcnt lgkmcnt(0)
	s_and_b32 s0, s0, 0xffff
	s_mul_i32 s6, s6, s0
	v_add_u32_e32 v0, s6, v0
	v_cmp_gt_i64_e32 vcc, s[8:9], v[0:1]
	s_and_saveexec_b64 s[0:1], vcc
	s_cbranch_execz .LBB58_2
; %bb.1:
	v_lshlrev_b64 v[0:1], 3, v[0:1]
	v_mov_b32_e32 v3, s15
	v_add_co_u32_e32 v2, vcc, s14, v0
	v_addc_co_u32_e32 v3, vcc, v3, v1, vcc
	global_load_dwordx2 v[2:3], v[2:3], off
	v_mov_b32_e32 v4, s11
	s_waitcnt vmcnt(0)
	v_lshlrev_b64 v[2:3], 3, v[2:3]
	v_add_co_u32_e32 v2, vcc, s10, v2
	v_addc_co_u32_e32 v3, vcc, v4, v3, vcc
	global_load_dwordx2 v[2:3], v[2:3], off
	v_mov_b32_e32 v4, s13
	v_add_co_u32_e32 v0, vcc, s12, v0
	v_addc_co_u32_e32 v1, vcc, v4, v1, vcc
	s_waitcnt vmcnt(0)
	global_store_dwordx2 v[0:1], v[2:3], off
.LBB58_2:
	s_endpgm
	.section	.rodata,"a",@progbits
	.p2align	6, 0x0
	.amdhsa_kernel _ZN9rocsparseL25kernel_get_permuted_arrayILj256EdlEEvT1_PKT0_PS2_PKS1_
		.amdhsa_group_segment_fixed_size 0
		.amdhsa_private_segment_fixed_size 0
		.amdhsa_kernarg_size 288
		.amdhsa_user_sgpr_count 6
		.amdhsa_user_sgpr_private_segment_buffer 1
		.amdhsa_user_sgpr_dispatch_ptr 0
		.amdhsa_user_sgpr_queue_ptr 0
		.amdhsa_user_sgpr_kernarg_segment_ptr 1
		.amdhsa_user_sgpr_dispatch_id 0
		.amdhsa_user_sgpr_flat_scratch_init 0
		.amdhsa_user_sgpr_kernarg_preload_length 0
		.amdhsa_user_sgpr_kernarg_preload_offset 0
		.amdhsa_user_sgpr_private_segment_size 0
		.amdhsa_uses_dynamic_stack 0
		.amdhsa_system_sgpr_private_segment_wavefront_offset 0
		.amdhsa_system_sgpr_workgroup_id_x 1
		.amdhsa_system_sgpr_workgroup_id_y 0
		.amdhsa_system_sgpr_workgroup_id_z 0
		.amdhsa_system_sgpr_workgroup_info 0
		.amdhsa_system_vgpr_workitem_id 0
		.amdhsa_next_free_vgpr 5
		.amdhsa_next_free_sgpr 16
		.amdhsa_accum_offset 8
		.amdhsa_reserve_vcc 1
		.amdhsa_reserve_flat_scratch 0
		.amdhsa_float_round_mode_32 0
		.amdhsa_float_round_mode_16_64 0
		.amdhsa_float_denorm_mode_32 3
		.amdhsa_float_denorm_mode_16_64 3
		.amdhsa_dx10_clamp 1
		.amdhsa_ieee_mode 1
		.amdhsa_fp16_overflow 0
		.amdhsa_tg_split 0
		.amdhsa_exception_fp_ieee_invalid_op 0
		.amdhsa_exception_fp_denorm_src 0
		.amdhsa_exception_fp_ieee_div_zero 0
		.amdhsa_exception_fp_ieee_overflow 0
		.amdhsa_exception_fp_ieee_underflow 0
		.amdhsa_exception_fp_ieee_inexact 0
		.amdhsa_exception_int_div_zero 0
	.end_amdhsa_kernel
	.section	.text._ZN9rocsparseL25kernel_get_permuted_arrayILj256EdlEEvT1_PKT0_PS2_PKS1_,"axG",@progbits,_ZN9rocsparseL25kernel_get_permuted_arrayILj256EdlEEvT1_PKT0_PS2_PKS1_,comdat
.Lfunc_end58:
	.size	_ZN9rocsparseL25kernel_get_permuted_arrayILj256EdlEEvT1_PKT0_PS2_PKS1_, .Lfunc_end58-_ZN9rocsparseL25kernel_get_permuted_arrayILj256EdlEEvT1_PKT0_PS2_PKS1_
                                        ; -- End function
	.section	.AMDGPU.csdata,"",@progbits
; Kernel info:
; codeLenInByte = 140
; NumSgprs: 20
; NumVgprs: 5
; NumAgprs: 0
; TotalNumVgprs: 5
; ScratchSize: 0
; MemoryBound: 0
; FloatMode: 240
; IeeeMode: 1
; LDSByteSize: 0 bytes/workgroup (compile time only)
; SGPRBlocks: 2
; VGPRBlocks: 0
; NumSGPRsForWavesPerEU: 20
; NumVGPRsForWavesPerEU: 5
; AccumOffset: 8
; Occupancy: 8
; WaveLimiterHint : 1
; COMPUTE_PGM_RSRC2:SCRATCH_EN: 0
; COMPUTE_PGM_RSRC2:USER_SGPR: 6
; COMPUTE_PGM_RSRC2:TRAP_HANDLER: 0
; COMPUTE_PGM_RSRC2:TGID_X_EN: 1
; COMPUTE_PGM_RSRC2:TGID_Y_EN: 0
; COMPUTE_PGM_RSRC2:TGID_Z_EN: 0
; COMPUTE_PGM_RSRC2:TIDIG_COMP_CNT: 0
; COMPUTE_PGM_RSRC3_GFX90A:ACCUM_OFFSET: 1
; COMPUTE_PGM_RSRC3_GFX90A:TG_SPLIT: 0
	.section	.text._ZN9rocsparseL25kernel_set_permuted_arrayILj256EdlEEvT1_PT0_PKS2_PKS1_,"axG",@progbits,_ZN9rocsparseL25kernel_set_permuted_arrayILj256EdlEEvT1_PT0_PKS2_PKS1_,comdat
	.globl	_ZN9rocsparseL25kernel_set_permuted_arrayILj256EdlEEvT1_PT0_PKS2_PKS1_ ; -- Begin function _ZN9rocsparseL25kernel_set_permuted_arrayILj256EdlEEvT1_PT0_PKS2_PKS1_
	.p2align	8
	.type	_ZN9rocsparseL25kernel_set_permuted_arrayILj256EdlEEvT1_PT0_PKS2_PKS1_,@function
_ZN9rocsparseL25kernel_set_permuted_arrayILj256EdlEEvT1_PT0_PKS2_PKS1_: ; @_ZN9rocsparseL25kernel_set_permuted_arrayILj256EdlEEvT1_PT0_PKS2_PKS1_
; %bb.0:
	s_load_dword s0, s[4:5], 0x2c
	s_load_dwordx8 s[8:15], s[4:5], 0x0
	v_mov_b32_e32 v1, 0
	s_waitcnt lgkmcnt(0)
	s_and_b32 s0, s0, 0xffff
	s_mul_i32 s6, s6, s0
	v_add_u32_e32 v0, s6, v0
	v_cmp_gt_i64_e32 vcc, s[8:9], v[0:1]
	s_and_saveexec_b64 s[0:1], vcc
	s_cbranch_execz .LBB59_2
; %bb.1:
	v_lshlrev_b64 v[0:1], 3, v[0:1]
	v_mov_b32_e32 v3, s15
	v_add_co_u32_e32 v2, vcc, s14, v0
	v_addc_co_u32_e32 v3, vcc, v3, v1, vcc
	global_load_dwordx2 v[2:3], v[2:3], off
	v_mov_b32_e32 v4, s13
	v_add_co_u32_e32 v0, vcc, s12, v0
	v_addc_co_u32_e32 v1, vcc, v4, v1, vcc
	global_load_dwordx2 v[0:1], v[0:1], off
	v_mov_b32_e32 v4, s11
	s_waitcnt vmcnt(1)
	v_lshlrev_b64 v[2:3], 3, v[2:3]
	v_add_co_u32_e32 v2, vcc, s10, v2
	v_addc_co_u32_e32 v3, vcc, v4, v3, vcc
	s_waitcnt vmcnt(0)
	global_store_dwordx2 v[2:3], v[0:1], off
.LBB59_2:
	s_endpgm
	.section	.rodata,"a",@progbits
	.p2align	6, 0x0
	.amdhsa_kernel _ZN9rocsparseL25kernel_set_permuted_arrayILj256EdlEEvT1_PT0_PKS2_PKS1_
		.amdhsa_group_segment_fixed_size 0
		.amdhsa_private_segment_fixed_size 0
		.amdhsa_kernarg_size 288
		.amdhsa_user_sgpr_count 6
		.amdhsa_user_sgpr_private_segment_buffer 1
		.amdhsa_user_sgpr_dispatch_ptr 0
		.amdhsa_user_sgpr_queue_ptr 0
		.amdhsa_user_sgpr_kernarg_segment_ptr 1
		.amdhsa_user_sgpr_dispatch_id 0
		.amdhsa_user_sgpr_flat_scratch_init 0
		.amdhsa_user_sgpr_kernarg_preload_length 0
		.amdhsa_user_sgpr_kernarg_preload_offset 0
		.amdhsa_user_sgpr_private_segment_size 0
		.amdhsa_uses_dynamic_stack 0
		.amdhsa_system_sgpr_private_segment_wavefront_offset 0
		.amdhsa_system_sgpr_workgroup_id_x 1
		.amdhsa_system_sgpr_workgroup_id_y 0
		.amdhsa_system_sgpr_workgroup_id_z 0
		.amdhsa_system_sgpr_workgroup_info 0
		.amdhsa_system_vgpr_workitem_id 0
		.amdhsa_next_free_vgpr 5
		.amdhsa_next_free_sgpr 16
		.amdhsa_accum_offset 8
		.amdhsa_reserve_vcc 1
		.amdhsa_reserve_flat_scratch 0
		.amdhsa_float_round_mode_32 0
		.amdhsa_float_round_mode_16_64 0
		.amdhsa_float_denorm_mode_32 3
		.amdhsa_float_denorm_mode_16_64 3
		.amdhsa_dx10_clamp 1
		.amdhsa_ieee_mode 1
		.amdhsa_fp16_overflow 0
		.amdhsa_tg_split 0
		.amdhsa_exception_fp_ieee_invalid_op 0
		.amdhsa_exception_fp_denorm_src 0
		.amdhsa_exception_fp_ieee_div_zero 0
		.amdhsa_exception_fp_ieee_overflow 0
		.amdhsa_exception_fp_ieee_underflow 0
		.amdhsa_exception_fp_ieee_inexact 0
		.amdhsa_exception_int_div_zero 0
	.end_amdhsa_kernel
	.section	.text._ZN9rocsparseL25kernel_set_permuted_arrayILj256EdlEEvT1_PT0_PKS2_PKS1_,"axG",@progbits,_ZN9rocsparseL25kernel_set_permuted_arrayILj256EdlEEvT1_PT0_PKS2_PKS1_,comdat
.Lfunc_end59:
	.size	_ZN9rocsparseL25kernel_set_permuted_arrayILj256EdlEEvT1_PT0_PKS2_PKS1_, .Lfunc_end59-_ZN9rocsparseL25kernel_set_permuted_arrayILj256EdlEEvT1_PT0_PKS2_PKS1_
                                        ; -- End function
	.section	.AMDGPU.csdata,"",@progbits
; Kernel info:
; codeLenInByte = 140
; NumSgprs: 20
; NumVgprs: 5
; NumAgprs: 0
; TotalNumVgprs: 5
; ScratchSize: 0
; MemoryBound: 0
; FloatMode: 240
; IeeeMode: 1
; LDSByteSize: 0 bytes/workgroup (compile time only)
; SGPRBlocks: 2
; VGPRBlocks: 0
; NumSGPRsForWavesPerEU: 20
; NumVGPRsForWavesPerEU: 5
; AccumOffset: 8
; Occupancy: 8
; WaveLimiterHint : 1
; COMPUTE_PGM_RSRC2:SCRATCH_EN: 0
; COMPUTE_PGM_RSRC2:USER_SGPR: 6
; COMPUTE_PGM_RSRC2:TRAP_HANDLER: 0
; COMPUTE_PGM_RSRC2:TGID_X_EN: 1
; COMPUTE_PGM_RSRC2:TGID_Y_EN: 0
; COMPUTE_PGM_RSRC2:TGID_Z_EN: 0
; COMPUTE_PGM_RSRC2:TIDIG_COMP_CNT: 0
; COMPUTE_PGM_RSRC3_GFX90A:ACCUM_OFFSET: 1
; COMPUTE_PGM_RSRC3_GFX90A:TG_SPLIT: 0
	.section	.text._ZN9rocsparseL25kernel_set_identity_arrayILj256E21rocsparse_complex_numIfElEEvT1_PT0_,"axG",@progbits,_ZN9rocsparseL25kernel_set_identity_arrayILj256E21rocsparse_complex_numIfElEEvT1_PT0_,comdat
	.globl	_ZN9rocsparseL25kernel_set_identity_arrayILj256E21rocsparse_complex_numIfElEEvT1_PT0_ ; -- Begin function _ZN9rocsparseL25kernel_set_identity_arrayILj256E21rocsparse_complex_numIfElEEvT1_PT0_
	.p2align	8
	.type	_ZN9rocsparseL25kernel_set_identity_arrayILj256E21rocsparse_complex_numIfElEEvT1_PT0_,@function
_ZN9rocsparseL25kernel_set_identity_arrayILj256E21rocsparse_complex_numIfElEEvT1_PT0_: ; @_ZN9rocsparseL25kernel_set_identity_arrayILj256E21rocsparse_complex_numIfElEEvT1_PT0_
; %bb.0:
	s_load_dword s7, s[4:5], 0x1c
	s_load_dwordx4 s[0:3], s[4:5], 0x0
	v_mov_b32_e32 v1, 0
	s_waitcnt lgkmcnt(0)
	s_and_b32 s4, s7, 0xffff
	s_mul_i32 s6, s6, s4
	v_add_u32_e32 v0, s6, v0
	v_cmp_gt_i64_e32 vcc, s[0:1], v[0:1]
	s_and_saveexec_b64 s[0:1], vcc
	s_cbranch_execz .LBB60_2
; %bb.1:
	v_lshlrev_b64 v[2:3], 3, v[0:1]
	v_mov_b32_e32 v0, s3
	v_add_co_u32_e32 v2, vcc, s2, v2
	v_addc_co_u32_e32 v3, vcc, v0, v3, vcc
	v_mov_b32_e32 v0, 1.0
	global_store_dwordx2 v[2:3], v[0:1], off
.LBB60_2:
	s_endpgm
	.section	.rodata,"a",@progbits
	.p2align	6, 0x0
	.amdhsa_kernel _ZN9rocsparseL25kernel_set_identity_arrayILj256E21rocsparse_complex_numIfElEEvT1_PT0_
		.amdhsa_group_segment_fixed_size 0
		.amdhsa_private_segment_fixed_size 0
		.amdhsa_kernarg_size 272
		.amdhsa_user_sgpr_count 6
		.amdhsa_user_sgpr_private_segment_buffer 1
		.amdhsa_user_sgpr_dispatch_ptr 0
		.amdhsa_user_sgpr_queue_ptr 0
		.amdhsa_user_sgpr_kernarg_segment_ptr 1
		.amdhsa_user_sgpr_dispatch_id 0
		.amdhsa_user_sgpr_flat_scratch_init 0
		.amdhsa_user_sgpr_kernarg_preload_length 0
		.amdhsa_user_sgpr_kernarg_preload_offset 0
		.amdhsa_user_sgpr_private_segment_size 0
		.amdhsa_uses_dynamic_stack 0
		.amdhsa_system_sgpr_private_segment_wavefront_offset 0
		.amdhsa_system_sgpr_workgroup_id_x 1
		.amdhsa_system_sgpr_workgroup_id_y 0
		.amdhsa_system_sgpr_workgroup_id_z 0
		.amdhsa_system_sgpr_workgroup_info 0
		.amdhsa_system_vgpr_workitem_id 0
		.amdhsa_next_free_vgpr 4
		.amdhsa_next_free_sgpr 8
		.amdhsa_accum_offset 4
		.amdhsa_reserve_vcc 1
		.amdhsa_reserve_flat_scratch 0
		.amdhsa_float_round_mode_32 0
		.amdhsa_float_round_mode_16_64 0
		.amdhsa_float_denorm_mode_32 3
		.amdhsa_float_denorm_mode_16_64 3
		.amdhsa_dx10_clamp 1
		.amdhsa_ieee_mode 1
		.amdhsa_fp16_overflow 0
		.amdhsa_tg_split 0
		.amdhsa_exception_fp_ieee_invalid_op 0
		.amdhsa_exception_fp_denorm_src 0
		.amdhsa_exception_fp_ieee_div_zero 0
		.amdhsa_exception_fp_ieee_overflow 0
		.amdhsa_exception_fp_ieee_underflow 0
		.amdhsa_exception_fp_ieee_inexact 0
		.amdhsa_exception_int_div_zero 0
	.end_amdhsa_kernel
	.section	.text._ZN9rocsparseL25kernel_set_identity_arrayILj256E21rocsparse_complex_numIfElEEvT1_PT0_,"axG",@progbits,_ZN9rocsparseL25kernel_set_identity_arrayILj256E21rocsparse_complex_numIfElEEvT1_PT0_,comdat
.Lfunc_end60:
	.size	_ZN9rocsparseL25kernel_set_identity_arrayILj256E21rocsparse_complex_numIfElEEvT1_PT0_, .Lfunc_end60-_ZN9rocsparseL25kernel_set_identity_arrayILj256E21rocsparse_complex_numIfElEEvT1_PT0_
                                        ; -- End function
	.section	.AMDGPU.csdata,"",@progbits
; Kernel info:
; codeLenInByte = 88
; NumSgprs: 12
; NumVgprs: 4
; NumAgprs: 0
; TotalNumVgprs: 4
; ScratchSize: 0
; MemoryBound: 0
; FloatMode: 240
; IeeeMode: 1
; LDSByteSize: 0 bytes/workgroup (compile time only)
; SGPRBlocks: 1
; VGPRBlocks: 0
; NumSGPRsForWavesPerEU: 12
; NumVGPRsForWavesPerEU: 4
; AccumOffset: 4
; Occupancy: 8
; WaveLimiterHint : 0
; COMPUTE_PGM_RSRC2:SCRATCH_EN: 0
; COMPUTE_PGM_RSRC2:USER_SGPR: 6
; COMPUTE_PGM_RSRC2:TRAP_HANDLER: 0
; COMPUTE_PGM_RSRC2:TGID_X_EN: 1
; COMPUTE_PGM_RSRC2:TGID_Y_EN: 0
; COMPUTE_PGM_RSRC2:TGID_Z_EN: 0
; COMPUTE_PGM_RSRC2:TIDIG_COMP_CNT: 0
; COMPUTE_PGM_RSRC3_GFX90A:ACCUM_OFFSET: 0
; COMPUTE_PGM_RSRC3_GFX90A:TG_SPLIT: 0
	.section	.text._ZN9rocsparseL25kernel_get_permuted_arrayILj256E21rocsparse_complex_numIfElEEvT1_PKT0_PS4_PKS3_,"axG",@progbits,_ZN9rocsparseL25kernel_get_permuted_arrayILj256E21rocsparse_complex_numIfElEEvT1_PKT0_PS4_PKS3_,comdat
	.globl	_ZN9rocsparseL25kernel_get_permuted_arrayILj256E21rocsparse_complex_numIfElEEvT1_PKT0_PS4_PKS3_ ; -- Begin function _ZN9rocsparseL25kernel_get_permuted_arrayILj256E21rocsparse_complex_numIfElEEvT1_PKT0_PS4_PKS3_
	.p2align	8
	.type	_ZN9rocsparseL25kernel_get_permuted_arrayILj256E21rocsparse_complex_numIfElEEvT1_PKT0_PS4_PKS3_,@function
_ZN9rocsparseL25kernel_get_permuted_arrayILj256E21rocsparse_complex_numIfElEEvT1_PKT0_PS4_PKS3_: ; @_ZN9rocsparseL25kernel_get_permuted_arrayILj256E21rocsparse_complex_numIfElEEvT1_PKT0_PS4_PKS3_
; %bb.0:
	s_load_dword s0, s[4:5], 0x2c
	s_load_dwordx8 s[8:15], s[4:5], 0x0
	v_mov_b32_e32 v1, 0
	s_waitcnt lgkmcnt(0)
	s_and_b32 s0, s0, 0xffff
	s_mul_i32 s6, s6, s0
	v_add_u32_e32 v0, s6, v0
	v_cmp_gt_i64_e32 vcc, s[8:9], v[0:1]
	s_and_saveexec_b64 s[0:1], vcc
	s_cbranch_execz .LBB61_2
; %bb.1:
	v_lshlrev_b64 v[0:1], 3, v[0:1]
	v_mov_b32_e32 v3, s15
	v_add_co_u32_e32 v2, vcc, s14, v0
	v_addc_co_u32_e32 v3, vcc, v3, v1, vcc
	global_load_dwordx2 v[2:3], v[2:3], off
	v_mov_b32_e32 v4, s11
	s_waitcnt vmcnt(0)
	v_lshlrev_b64 v[2:3], 3, v[2:3]
	v_add_co_u32_e32 v2, vcc, s10, v2
	v_addc_co_u32_e32 v3, vcc, v4, v3, vcc
	global_load_dwordx2 v[2:3], v[2:3], off
	v_mov_b32_e32 v4, s13
	v_add_co_u32_e32 v0, vcc, s12, v0
	v_addc_co_u32_e32 v1, vcc, v4, v1, vcc
	s_waitcnt vmcnt(0)
	global_store_dwordx2 v[0:1], v[2:3], off
.LBB61_2:
	s_endpgm
	.section	.rodata,"a",@progbits
	.p2align	6, 0x0
	.amdhsa_kernel _ZN9rocsparseL25kernel_get_permuted_arrayILj256E21rocsparse_complex_numIfElEEvT1_PKT0_PS4_PKS3_
		.amdhsa_group_segment_fixed_size 0
		.amdhsa_private_segment_fixed_size 0
		.amdhsa_kernarg_size 288
		.amdhsa_user_sgpr_count 6
		.amdhsa_user_sgpr_private_segment_buffer 1
		.amdhsa_user_sgpr_dispatch_ptr 0
		.amdhsa_user_sgpr_queue_ptr 0
		.amdhsa_user_sgpr_kernarg_segment_ptr 1
		.amdhsa_user_sgpr_dispatch_id 0
		.amdhsa_user_sgpr_flat_scratch_init 0
		.amdhsa_user_sgpr_kernarg_preload_length 0
		.amdhsa_user_sgpr_kernarg_preload_offset 0
		.amdhsa_user_sgpr_private_segment_size 0
		.amdhsa_uses_dynamic_stack 0
		.amdhsa_system_sgpr_private_segment_wavefront_offset 0
		.amdhsa_system_sgpr_workgroup_id_x 1
		.amdhsa_system_sgpr_workgroup_id_y 0
		.amdhsa_system_sgpr_workgroup_id_z 0
		.amdhsa_system_sgpr_workgroup_info 0
		.amdhsa_system_vgpr_workitem_id 0
		.amdhsa_next_free_vgpr 5
		.amdhsa_next_free_sgpr 16
		.amdhsa_accum_offset 8
		.amdhsa_reserve_vcc 1
		.amdhsa_reserve_flat_scratch 0
		.amdhsa_float_round_mode_32 0
		.amdhsa_float_round_mode_16_64 0
		.amdhsa_float_denorm_mode_32 3
		.amdhsa_float_denorm_mode_16_64 3
		.amdhsa_dx10_clamp 1
		.amdhsa_ieee_mode 1
		.amdhsa_fp16_overflow 0
		.amdhsa_tg_split 0
		.amdhsa_exception_fp_ieee_invalid_op 0
		.amdhsa_exception_fp_denorm_src 0
		.amdhsa_exception_fp_ieee_div_zero 0
		.amdhsa_exception_fp_ieee_overflow 0
		.amdhsa_exception_fp_ieee_underflow 0
		.amdhsa_exception_fp_ieee_inexact 0
		.amdhsa_exception_int_div_zero 0
	.end_amdhsa_kernel
	.section	.text._ZN9rocsparseL25kernel_get_permuted_arrayILj256E21rocsparse_complex_numIfElEEvT1_PKT0_PS4_PKS3_,"axG",@progbits,_ZN9rocsparseL25kernel_get_permuted_arrayILj256E21rocsparse_complex_numIfElEEvT1_PKT0_PS4_PKS3_,comdat
.Lfunc_end61:
	.size	_ZN9rocsparseL25kernel_get_permuted_arrayILj256E21rocsparse_complex_numIfElEEvT1_PKT0_PS4_PKS3_, .Lfunc_end61-_ZN9rocsparseL25kernel_get_permuted_arrayILj256E21rocsparse_complex_numIfElEEvT1_PKT0_PS4_PKS3_
                                        ; -- End function
	.section	.AMDGPU.csdata,"",@progbits
; Kernel info:
; codeLenInByte = 140
; NumSgprs: 20
; NumVgprs: 5
; NumAgprs: 0
; TotalNumVgprs: 5
; ScratchSize: 0
; MemoryBound: 0
; FloatMode: 240
; IeeeMode: 1
; LDSByteSize: 0 bytes/workgroup (compile time only)
; SGPRBlocks: 2
; VGPRBlocks: 0
; NumSGPRsForWavesPerEU: 20
; NumVGPRsForWavesPerEU: 5
; AccumOffset: 8
; Occupancy: 8
; WaveLimiterHint : 1
; COMPUTE_PGM_RSRC2:SCRATCH_EN: 0
; COMPUTE_PGM_RSRC2:USER_SGPR: 6
; COMPUTE_PGM_RSRC2:TRAP_HANDLER: 0
; COMPUTE_PGM_RSRC2:TGID_X_EN: 1
; COMPUTE_PGM_RSRC2:TGID_Y_EN: 0
; COMPUTE_PGM_RSRC2:TGID_Z_EN: 0
; COMPUTE_PGM_RSRC2:TIDIG_COMP_CNT: 0
; COMPUTE_PGM_RSRC3_GFX90A:ACCUM_OFFSET: 1
; COMPUTE_PGM_RSRC3_GFX90A:TG_SPLIT: 0
	.section	.text._ZN9rocsparseL25kernel_set_permuted_arrayILj256E21rocsparse_complex_numIfElEEvT1_PT0_PKS4_PKS3_,"axG",@progbits,_ZN9rocsparseL25kernel_set_permuted_arrayILj256E21rocsparse_complex_numIfElEEvT1_PT0_PKS4_PKS3_,comdat
	.globl	_ZN9rocsparseL25kernel_set_permuted_arrayILj256E21rocsparse_complex_numIfElEEvT1_PT0_PKS4_PKS3_ ; -- Begin function _ZN9rocsparseL25kernel_set_permuted_arrayILj256E21rocsparse_complex_numIfElEEvT1_PT0_PKS4_PKS3_
	.p2align	8
	.type	_ZN9rocsparseL25kernel_set_permuted_arrayILj256E21rocsparse_complex_numIfElEEvT1_PT0_PKS4_PKS3_,@function
_ZN9rocsparseL25kernel_set_permuted_arrayILj256E21rocsparse_complex_numIfElEEvT1_PT0_PKS4_PKS3_: ; @_ZN9rocsparseL25kernel_set_permuted_arrayILj256E21rocsparse_complex_numIfElEEvT1_PT0_PKS4_PKS3_
; %bb.0:
	s_load_dword s0, s[4:5], 0x2c
	s_load_dwordx8 s[8:15], s[4:5], 0x0
	v_mov_b32_e32 v1, 0
	s_waitcnt lgkmcnt(0)
	s_and_b32 s0, s0, 0xffff
	s_mul_i32 s6, s6, s0
	v_add_u32_e32 v0, s6, v0
	v_cmp_gt_i64_e32 vcc, s[8:9], v[0:1]
	s_and_saveexec_b64 s[0:1], vcc
	s_cbranch_execz .LBB62_2
; %bb.1:
	v_lshlrev_b64 v[0:1], 3, v[0:1]
	v_mov_b32_e32 v3, s15
	v_add_co_u32_e32 v2, vcc, s14, v0
	v_addc_co_u32_e32 v3, vcc, v3, v1, vcc
	global_load_dwordx2 v[2:3], v[2:3], off
	v_mov_b32_e32 v4, s13
	v_add_co_u32_e32 v0, vcc, s12, v0
	v_addc_co_u32_e32 v1, vcc, v4, v1, vcc
	global_load_dwordx2 v[0:1], v[0:1], off
	v_mov_b32_e32 v4, s11
	s_waitcnt vmcnt(1)
	v_lshlrev_b64 v[2:3], 3, v[2:3]
	v_add_co_u32_e32 v2, vcc, s10, v2
	v_addc_co_u32_e32 v3, vcc, v4, v3, vcc
	s_waitcnt vmcnt(0)
	global_store_dwordx2 v[2:3], v[0:1], off
.LBB62_2:
	s_endpgm
	.section	.rodata,"a",@progbits
	.p2align	6, 0x0
	.amdhsa_kernel _ZN9rocsparseL25kernel_set_permuted_arrayILj256E21rocsparse_complex_numIfElEEvT1_PT0_PKS4_PKS3_
		.amdhsa_group_segment_fixed_size 0
		.amdhsa_private_segment_fixed_size 0
		.amdhsa_kernarg_size 288
		.amdhsa_user_sgpr_count 6
		.amdhsa_user_sgpr_private_segment_buffer 1
		.amdhsa_user_sgpr_dispatch_ptr 0
		.amdhsa_user_sgpr_queue_ptr 0
		.amdhsa_user_sgpr_kernarg_segment_ptr 1
		.amdhsa_user_sgpr_dispatch_id 0
		.amdhsa_user_sgpr_flat_scratch_init 0
		.amdhsa_user_sgpr_kernarg_preload_length 0
		.amdhsa_user_sgpr_kernarg_preload_offset 0
		.amdhsa_user_sgpr_private_segment_size 0
		.amdhsa_uses_dynamic_stack 0
		.amdhsa_system_sgpr_private_segment_wavefront_offset 0
		.amdhsa_system_sgpr_workgroup_id_x 1
		.amdhsa_system_sgpr_workgroup_id_y 0
		.amdhsa_system_sgpr_workgroup_id_z 0
		.amdhsa_system_sgpr_workgroup_info 0
		.amdhsa_system_vgpr_workitem_id 0
		.amdhsa_next_free_vgpr 5
		.amdhsa_next_free_sgpr 16
		.amdhsa_accum_offset 8
		.amdhsa_reserve_vcc 1
		.amdhsa_reserve_flat_scratch 0
		.amdhsa_float_round_mode_32 0
		.amdhsa_float_round_mode_16_64 0
		.amdhsa_float_denorm_mode_32 3
		.amdhsa_float_denorm_mode_16_64 3
		.amdhsa_dx10_clamp 1
		.amdhsa_ieee_mode 1
		.amdhsa_fp16_overflow 0
		.amdhsa_tg_split 0
		.amdhsa_exception_fp_ieee_invalid_op 0
		.amdhsa_exception_fp_denorm_src 0
		.amdhsa_exception_fp_ieee_div_zero 0
		.amdhsa_exception_fp_ieee_overflow 0
		.amdhsa_exception_fp_ieee_underflow 0
		.amdhsa_exception_fp_ieee_inexact 0
		.amdhsa_exception_int_div_zero 0
	.end_amdhsa_kernel
	.section	.text._ZN9rocsparseL25kernel_set_permuted_arrayILj256E21rocsparse_complex_numIfElEEvT1_PT0_PKS4_PKS3_,"axG",@progbits,_ZN9rocsparseL25kernel_set_permuted_arrayILj256E21rocsparse_complex_numIfElEEvT1_PT0_PKS4_PKS3_,comdat
.Lfunc_end62:
	.size	_ZN9rocsparseL25kernel_set_permuted_arrayILj256E21rocsparse_complex_numIfElEEvT1_PT0_PKS4_PKS3_, .Lfunc_end62-_ZN9rocsparseL25kernel_set_permuted_arrayILj256E21rocsparse_complex_numIfElEEvT1_PT0_PKS4_PKS3_
                                        ; -- End function
	.section	.AMDGPU.csdata,"",@progbits
; Kernel info:
; codeLenInByte = 140
; NumSgprs: 20
; NumVgprs: 5
; NumAgprs: 0
; TotalNumVgprs: 5
; ScratchSize: 0
; MemoryBound: 0
; FloatMode: 240
; IeeeMode: 1
; LDSByteSize: 0 bytes/workgroup (compile time only)
; SGPRBlocks: 2
; VGPRBlocks: 0
; NumSGPRsForWavesPerEU: 20
; NumVGPRsForWavesPerEU: 5
; AccumOffset: 8
; Occupancy: 8
; WaveLimiterHint : 1
; COMPUTE_PGM_RSRC2:SCRATCH_EN: 0
; COMPUTE_PGM_RSRC2:USER_SGPR: 6
; COMPUTE_PGM_RSRC2:TRAP_HANDLER: 0
; COMPUTE_PGM_RSRC2:TGID_X_EN: 1
; COMPUTE_PGM_RSRC2:TGID_Y_EN: 0
; COMPUTE_PGM_RSRC2:TGID_Z_EN: 0
; COMPUTE_PGM_RSRC2:TIDIG_COMP_CNT: 0
; COMPUTE_PGM_RSRC3_GFX90A:ACCUM_OFFSET: 1
; COMPUTE_PGM_RSRC3_GFX90A:TG_SPLIT: 0
	.section	.text._ZN9rocsparseL25kernel_set_identity_arrayILj256E21rocsparse_complex_numIdElEEvT1_PT0_,"axG",@progbits,_ZN9rocsparseL25kernel_set_identity_arrayILj256E21rocsparse_complex_numIdElEEvT1_PT0_,comdat
	.globl	_ZN9rocsparseL25kernel_set_identity_arrayILj256E21rocsparse_complex_numIdElEEvT1_PT0_ ; -- Begin function _ZN9rocsparseL25kernel_set_identity_arrayILj256E21rocsparse_complex_numIdElEEvT1_PT0_
	.p2align	8
	.type	_ZN9rocsparseL25kernel_set_identity_arrayILj256E21rocsparse_complex_numIdElEEvT1_PT0_,@function
_ZN9rocsparseL25kernel_set_identity_arrayILj256E21rocsparse_complex_numIdElEEvT1_PT0_: ; @_ZN9rocsparseL25kernel_set_identity_arrayILj256E21rocsparse_complex_numIdElEEvT1_PT0_
; %bb.0:
	s_load_dword s7, s[4:5], 0x1c
	s_load_dwordx4 s[0:3], s[4:5], 0x0
	v_mov_b32_e32 v3, 0
	s_waitcnt lgkmcnt(0)
	s_and_b32 s4, s7, 0xffff
	s_mul_i32 s6, s6, s4
	v_add_u32_e32 v2, s6, v0
	v_cmp_gt_i64_e32 vcc, s[0:1], v[2:3]
	s_and_saveexec_b64 s[0:1], vcc
	s_cbranch_execz .LBB63_2
; %bb.1:
	v_lshlrev_b64 v[0:1], 4, v[2:3]
	v_mov_b32_e32 v2, s3
	v_add_co_u32_e32 v4, vcc, s2, v0
	v_addc_co_u32_e32 v5, vcc, v2, v1, vcc
	v_mov_b32_e32 v1, 0x3ff00000
	v_mov_b32_e32 v0, v3
	;; [unrolled: 1-line block ×3, first 2 shown]
	global_store_dwordx4 v[4:5], v[0:3], off
.LBB63_2:
	s_endpgm
	.section	.rodata,"a",@progbits
	.p2align	6, 0x0
	.amdhsa_kernel _ZN9rocsparseL25kernel_set_identity_arrayILj256E21rocsparse_complex_numIdElEEvT1_PT0_
		.amdhsa_group_segment_fixed_size 0
		.amdhsa_private_segment_fixed_size 0
		.amdhsa_kernarg_size 272
		.amdhsa_user_sgpr_count 6
		.amdhsa_user_sgpr_private_segment_buffer 1
		.amdhsa_user_sgpr_dispatch_ptr 0
		.amdhsa_user_sgpr_queue_ptr 0
		.amdhsa_user_sgpr_kernarg_segment_ptr 1
		.amdhsa_user_sgpr_dispatch_id 0
		.amdhsa_user_sgpr_flat_scratch_init 0
		.amdhsa_user_sgpr_kernarg_preload_length 0
		.amdhsa_user_sgpr_kernarg_preload_offset 0
		.amdhsa_user_sgpr_private_segment_size 0
		.amdhsa_uses_dynamic_stack 0
		.amdhsa_system_sgpr_private_segment_wavefront_offset 0
		.amdhsa_system_sgpr_workgroup_id_x 1
		.amdhsa_system_sgpr_workgroup_id_y 0
		.amdhsa_system_sgpr_workgroup_id_z 0
		.amdhsa_system_sgpr_workgroup_info 0
		.amdhsa_system_vgpr_workitem_id 0
		.amdhsa_next_free_vgpr 6
		.amdhsa_next_free_sgpr 8
		.amdhsa_accum_offset 8
		.amdhsa_reserve_vcc 1
		.amdhsa_reserve_flat_scratch 0
		.amdhsa_float_round_mode_32 0
		.amdhsa_float_round_mode_16_64 0
		.amdhsa_float_denorm_mode_32 3
		.amdhsa_float_denorm_mode_16_64 3
		.amdhsa_dx10_clamp 1
		.amdhsa_ieee_mode 1
		.amdhsa_fp16_overflow 0
		.amdhsa_tg_split 0
		.amdhsa_exception_fp_ieee_invalid_op 0
		.amdhsa_exception_fp_denorm_src 0
		.amdhsa_exception_fp_ieee_div_zero 0
		.amdhsa_exception_fp_ieee_overflow 0
		.amdhsa_exception_fp_ieee_underflow 0
		.amdhsa_exception_fp_ieee_inexact 0
		.amdhsa_exception_int_div_zero 0
	.end_amdhsa_kernel
	.section	.text._ZN9rocsparseL25kernel_set_identity_arrayILj256E21rocsparse_complex_numIdElEEvT1_PT0_,"axG",@progbits,_ZN9rocsparseL25kernel_set_identity_arrayILj256E21rocsparse_complex_numIdElEEvT1_PT0_,comdat
.Lfunc_end63:
	.size	_ZN9rocsparseL25kernel_set_identity_arrayILj256E21rocsparse_complex_numIdElEEvT1_PT0_, .Lfunc_end63-_ZN9rocsparseL25kernel_set_identity_arrayILj256E21rocsparse_complex_numIdElEEvT1_PT0_
                                        ; -- End function
	.section	.AMDGPU.csdata,"",@progbits
; Kernel info:
; codeLenInByte = 100
; NumSgprs: 12
; NumVgprs: 6
; NumAgprs: 0
; TotalNumVgprs: 6
; ScratchSize: 0
; MemoryBound: 0
; FloatMode: 240
; IeeeMode: 1
; LDSByteSize: 0 bytes/workgroup (compile time only)
; SGPRBlocks: 1
; VGPRBlocks: 0
; NumSGPRsForWavesPerEU: 12
; NumVGPRsForWavesPerEU: 6
; AccumOffset: 8
; Occupancy: 8
; WaveLimiterHint : 0
; COMPUTE_PGM_RSRC2:SCRATCH_EN: 0
; COMPUTE_PGM_RSRC2:USER_SGPR: 6
; COMPUTE_PGM_RSRC2:TRAP_HANDLER: 0
; COMPUTE_PGM_RSRC2:TGID_X_EN: 1
; COMPUTE_PGM_RSRC2:TGID_Y_EN: 0
; COMPUTE_PGM_RSRC2:TGID_Z_EN: 0
; COMPUTE_PGM_RSRC2:TIDIG_COMP_CNT: 0
; COMPUTE_PGM_RSRC3_GFX90A:ACCUM_OFFSET: 1
; COMPUTE_PGM_RSRC3_GFX90A:TG_SPLIT: 0
	.section	.text._ZN9rocsparseL25kernel_get_permuted_arrayILj256E21rocsparse_complex_numIdElEEvT1_PKT0_PS4_PKS3_,"axG",@progbits,_ZN9rocsparseL25kernel_get_permuted_arrayILj256E21rocsparse_complex_numIdElEEvT1_PKT0_PS4_PKS3_,comdat
	.globl	_ZN9rocsparseL25kernel_get_permuted_arrayILj256E21rocsparse_complex_numIdElEEvT1_PKT0_PS4_PKS3_ ; -- Begin function _ZN9rocsparseL25kernel_get_permuted_arrayILj256E21rocsparse_complex_numIdElEEvT1_PKT0_PS4_PKS3_
	.p2align	8
	.type	_ZN9rocsparseL25kernel_get_permuted_arrayILj256E21rocsparse_complex_numIdElEEvT1_PKT0_PS4_PKS3_,@function
_ZN9rocsparseL25kernel_get_permuted_arrayILj256E21rocsparse_complex_numIdElEEvT1_PKT0_PS4_PKS3_: ; @_ZN9rocsparseL25kernel_get_permuted_arrayILj256E21rocsparse_complex_numIdElEEvT1_PKT0_PS4_PKS3_
; %bb.0:
	s_load_dword s0, s[4:5], 0x2c
	s_load_dwordx8 s[8:15], s[4:5], 0x0
	v_mov_b32_e32 v1, 0
	s_waitcnt lgkmcnt(0)
	s_and_b32 s0, s0, 0xffff
	s_mul_i32 s6, s6, s0
	v_add_u32_e32 v0, s6, v0
	v_cmp_gt_i64_e32 vcc, s[8:9], v[0:1]
	s_and_saveexec_b64 s[0:1], vcc
	s_cbranch_execz .LBB64_2
; %bb.1:
	v_lshlrev_b64 v[2:3], 3, v[0:1]
	v_mov_b32_e32 v4, s15
	v_add_co_u32_e32 v2, vcc, s14, v2
	v_addc_co_u32_e32 v3, vcc, v4, v3, vcc
	global_load_dwordx2 v[2:3], v[2:3], off
	v_mov_b32_e32 v4, s11
	v_lshlrev_b64 v[0:1], 4, v[0:1]
	v_mov_b32_e32 v6, s13
	s_waitcnt vmcnt(0)
	v_lshlrev_b64 v[2:3], 4, v[2:3]
	v_add_co_u32_e32 v2, vcc, s10, v2
	v_addc_co_u32_e32 v3, vcc, v4, v3, vcc
	global_load_dwordx4 v[2:5], v[2:3], off
	v_add_co_u32_e32 v0, vcc, s12, v0
	v_addc_co_u32_e32 v1, vcc, v6, v1, vcc
	s_waitcnt vmcnt(0)
	global_store_dwordx4 v[0:1], v[2:5], off
.LBB64_2:
	s_endpgm
	.section	.rodata,"a",@progbits
	.p2align	6, 0x0
	.amdhsa_kernel _ZN9rocsparseL25kernel_get_permuted_arrayILj256E21rocsparse_complex_numIdElEEvT1_PKT0_PS4_PKS3_
		.amdhsa_group_segment_fixed_size 0
		.amdhsa_private_segment_fixed_size 0
		.amdhsa_kernarg_size 288
		.amdhsa_user_sgpr_count 6
		.amdhsa_user_sgpr_private_segment_buffer 1
		.amdhsa_user_sgpr_dispatch_ptr 0
		.amdhsa_user_sgpr_queue_ptr 0
		.amdhsa_user_sgpr_kernarg_segment_ptr 1
		.amdhsa_user_sgpr_dispatch_id 0
		.amdhsa_user_sgpr_flat_scratch_init 0
		.amdhsa_user_sgpr_kernarg_preload_length 0
		.amdhsa_user_sgpr_kernarg_preload_offset 0
		.amdhsa_user_sgpr_private_segment_size 0
		.amdhsa_uses_dynamic_stack 0
		.amdhsa_system_sgpr_private_segment_wavefront_offset 0
		.amdhsa_system_sgpr_workgroup_id_x 1
		.amdhsa_system_sgpr_workgroup_id_y 0
		.amdhsa_system_sgpr_workgroup_id_z 0
		.amdhsa_system_sgpr_workgroup_info 0
		.amdhsa_system_vgpr_workitem_id 0
		.amdhsa_next_free_vgpr 7
		.amdhsa_next_free_sgpr 16
		.amdhsa_accum_offset 8
		.amdhsa_reserve_vcc 1
		.amdhsa_reserve_flat_scratch 0
		.amdhsa_float_round_mode_32 0
		.amdhsa_float_round_mode_16_64 0
		.amdhsa_float_denorm_mode_32 3
		.amdhsa_float_denorm_mode_16_64 3
		.amdhsa_dx10_clamp 1
		.amdhsa_ieee_mode 1
		.amdhsa_fp16_overflow 0
		.amdhsa_tg_split 0
		.amdhsa_exception_fp_ieee_invalid_op 0
		.amdhsa_exception_fp_denorm_src 0
		.amdhsa_exception_fp_ieee_div_zero 0
		.amdhsa_exception_fp_ieee_overflow 0
		.amdhsa_exception_fp_ieee_underflow 0
		.amdhsa_exception_fp_ieee_inexact 0
		.amdhsa_exception_int_div_zero 0
	.end_amdhsa_kernel
	.section	.text._ZN9rocsparseL25kernel_get_permuted_arrayILj256E21rocsparse_complex_numIdElEEvT1_PKT0_PS4_PKS3_,"axG",@progbits,_ZN9rocsparseL25kernel_get_permuted_arrayILj256E21rocsparse_complex_numIdElEEvT1_PKT0_PS4_PKS3_,comdat
.Lfunc_end64:
	.size	_ZN9rocsparseL25kernel_get_permuted_arrayILj256E21rocsparse_complex_numIdElEEvT1_PKT0_PS4_PKS3_, .Lfunc_end64-_ZN9rocsparseL25kernel_get_permuted_arrayILj256E21rocsparse_complex_numIdElEEvT1_PKT0_PS4_PKS3_
                                        ; -- End function
	.section	.AMDGPU.csdata,"",@progbits
; Kernel info:
; codeLenInByte = 148
; NumSgprs: 20
; NumVgprs: 7
; NumAgprs: 0
; TotalNumVgprs: 7
; ScratchSize: 0
; MemoryBound: 0
; FloatMode: 240
; IeeeMode: 1
; LDSByteSize: 0 bytes/workgroup (compile time only)
; SGPRBlocks: 2
; VGPRBlocks: 0
; NumSGPRsForWavesPerEU: 20
; NumVGPRsForWavesPerEU: 7
; AccumOffset: 8
; Occupancy: 8
; WaveLimiterHint : 0
; COMPUTE_PGM_RSRC2:SCRATCH_EN: 0
; COMPUTE_PGM_RSRC2:USER_SGPR: 6
; COMPUTE_PGM_RSRC2:TRAP_HANDLER: 0
; COMPUTE_PGM_RSRC2:TGID_X_EN: 1
; COMPUTE_PGM_RSRC2:TGID_Y_EN: 0
; COMPUTE_PGM_RSRC2:TGID_Z_EN: 0
; COMPUTE_PGM_RSRC2:TIDIG_COMP_CNT: 0
; COMPUTE_PGM_RSRC3_GFX90A:ACCUM_OFFSET: 1
; COMPUTE_PGM_RSRC3_GFX90A:TG_SPLIT: 0
	.section	.text._ZN9rocsparseL25kernel_set_permuted_arrayILj256E21rocsparse_complex_numIdElEEvT1_PT0_PKS4_PKS3_,"axG",@progbits,_ZN9rocsparseL25kernel_set_permuted_arrayILj256E21rocsparse_complex_numIdElEEvT1_PT0_PKS4_PKS3_,comdat
	.globl	_ZN9rocsparseL25kernel_set_permuted_arrayILj256E21rocsparse_complex_numIdElEEvT1_PT0_PKS4_PKS3_ ; -- Begin function _ZN9rocsparseL25kernel_set_permuted_arrayILj256E21rocsparse_complex_numIdElEEvT1_PT0_PKS4_PKS3_
	.p2align	8
	.type	_ZN9rocsparseL25kernel_set_permuted_arrayILj256E21rocsparse_complex_numIdElEEvT1_PT0_PKS4_PKS3_,@function
_ZN9rocsparseL25kernel_set_permuted_arrayILj256E21rocsparse_complex_numIdElEEvT1_PT0_PKS4_PKS3_: ; @_ZN9rocsparseL25kernel_set_permuted_arrayILj256E21rocsparse_complex_numIdElEEvT1_PT0_PKS4_PKS3_
; %bb.0:
	s_load_dword s0, s[4:5], 0x2c
	s_load_dwordx8 s[8:15], s[4:5], 0x0
	v_mov_b32_e32 v1, 0
	s_waitcnt lgkmcnt(0)
	s_and_b32 s0, s0, 0xffff
	s_mul_i32 s6, s6, s0
	v_add_u32_e32 v0, s6, v0
	v_cmp_gt_i64_e32 vcc, s[8:9], v[0:1]
	s_and_saveexec_b64 s[0:1], vcc
	s_cbranch_execz .LBB65_2
; %bb.1:
	v_lshlrev_b64 v[2:3], 3, v[0:1]
	v_mov_b32_e32 v4, s15
	v_add_co_u32_e32 v2, vcc, s14, v2
	v_addc_co_u32_e32 v3, vcc, v4, v3, vcc
	v_lshlrev_b64 v[0:1], 4, v[0:1]
	global_load_dwordx2 v[4:5], v[2:3], off
	v_mov_b32_e32 v6, s13
	v_add_co_u32_e32 v0, vcc, s12, v0
	v_addc_co_u32_e32 v1, vcc, v6, v1, vcc
	global_load_dwordx4 v[0:3], v[0:1], off
	v_mov_b32_e32 v6, s11
	s_waitcnt vmcnt(1)
	v_lshlrev_b64 v[4:5], 4, v[4:5]
	v_add_co_u32_e32 v4, vcc, s10, v4
	v_addc_co_u32_e32 v5, vcc, v6, v5, vcc
	s_waitcnt vmcnt(0)
	global_store_dwordx4 v[4:5], v[0:3], off
.LBB65_2:
	s_endpgm
	.section	.rodata,"a",@progbits
	.p2align	6, 0x0
	.amdhsa_kernel _ZN9rocsparseL25kernel_set_permuted_arrayILj256E21rocsparse_complex_numIdElEEvT1_PT0_PKS4_PKS3_
		.amdhsa_group_segment_fixed_size 0
		.amdhsa_private_segment_fixed_size 0
		.amdhsa_kernarg_size 288
		.amdhsa_user_sgpr_count 6
		.amdhsa_user_sgpr_private_segment_buffer 1
		.amdhsa_user_sgpr_dispatch_ptr 0
		.amdhsa_user_sgpr_queue_ptr 0
		.amdhsa_user_sgpr_kernarg_segment_ptr 1
		.amdhsa_user_sgpr_dispatch_id 0
		.amdhsa_user_sgpr_flat_scratch_init 0
		.amdhsa_user_sgpr_kernarg_preload_length 0
		.amdhsa_user_sgpr_kernarg_preload_offset 0
		.amdhsa_user_sgpr_private_segment_size 0
		.amdhsa_uses_dynamic_stack 0
		.amdhsa_system_sgpr_private_segment_wavefront_offset 0
		.amdhsa_system_sgpr_workgroup_id_x 1
		.amdhsa_system_sgpr_workgroup_id_y 0
		.amdhsa_system_sgpr_workgroup_id_z 0
		.amdhsa_system_sgpr_workgroup_info 0
		.amdhsa_system_vgpr_workitem_id 0
		.amdhsa_next_free_vgpr 7
		.amdhsa_next_free_sgpr 16
		.amdhsa_accum_offset 8
		.amdhsa_reserve_vcc 1
		.amdhsa_reserve_flat_scratch 0
		.amdhsa_float_round_mode_32 0
		.amdhsa_float_round_mode_16_64 0
		.amdhsa_float_denorm_mode_32 3
		.amdhsa_float_denorm_mode_16_64 3
		.amdhsa_dx10_clamp 1
		.amdhsa_ieee_mode 1
		.amdhsa_fp16_overflow 0
		.amdhsa_tg_split 0
		.amdhsa_exception_fp_ieee_invalid_op 0
		.amdhsa_exception_fp_denorm_src 0
		.amdhsa_exception_fp_ieee_div_zero 0
		.amdhsa_exception_fp_ieee_overflow 0
		.amdhsa_exception_fp_ieee_underflow 0
		.amdhsa_exception_fp_ieee_inexact 0
		.amdhsa_exception_int_div_zero 0
	.end_amdhsa_kernel
	.section	.text._ZN9rocsparseL25kernel_set_permuted_arrayILj256E21rocsparse_complex_numIdElEEvT1_PT0_PKS4_PKS3_,"axG",@progbits,_ZN9rocsparseL25kernel_set_permuted_arrayILj256E21rocsparse_complex_numIdElEEvT1_PT0_PKS4_PKS3_,comdat
.Lfunc_end65:
	.size	_ZN9rocsparseL25kernel_set_permuted_arrayILj256E21rocsparse_complex_numIdElEEvT1_PT0_PKS4_PKS3_, .Lfunc_end65-_ZN9rocsparseL25kernel_set_permuted_arrayILj256E21rocsparse_complex_numIdElEEvT1_PT0_PKS4_PKS3_
                                        ; -- End function
	.section	.AMDGPU.csdata,"",@progbits
; Kernel info:
; codeLenInByte = 148
; NumSgprs: 20
; NumVgprs: 7
; NumAgprs: 0
; TotalNumVgprs: 7
; ScratchSize: 0
; MemoryBound: 0
; FloatMode: 240
; IeeeMode: 1
; LDSByteSize: 0 bytes/workgroup (compile time only)
; SGPRBlocks: 2
; VGPRBlocks: 0
; NumSGPRsForWavesPerEU: 20
; NumVGPRsForWavesPerEU: 7
; AccumOffset: 8
; Occupancy: 8
; WaveLimiterHint : 1
; COMPUTE_PGM_RSRC2:SCRATCH_EN: 0
; COMPUTE_PGM_RSRC2:USER_SGPR: 6
; COMPUTE_PGM_RSRC2:TRAP_HANDLER: 0
; COMPUTE_PGM_RSRC2:TGID_X_EN: 1
; COMPUTE_PGM_RSRC2:TGID_Y_EN: 0
; COMPUTE_PGM_RSRC2:TGID_Z_EN: 0
; COMPUTE_PGM_RSRC2:TIDIG_COMP_CNT: 0
; COMPUTE_PGM_RSRC3_GFX90A:ACCUM_OFFSET: 1
; COMPUTE_PGM_RSRC3_GFX90A:TG_SPLIT: 0
	.section	.text._ZN9rocsparseL25kernel_set_identity_arrayILj512EflEEvT1_PT0_,"axG",@progbits,_ZN9rocsparseL25kernel_set_identity_arrayILj512EflEEvT1_PT0_,comdat
	.globl	_ZN9rocsparseL25kernel_set_identity_arrayILj512EflEEvT1_PT0_ ; -- Begin function _ZN9rocsparseL25kernel_set_identity_arrayILj512EflEEvT1_PT0_
	.p2align	8
	.type	_ZN9rocsparseL25kernel_set_identity_arrayILj512EflEEvT1_PT0_,@function
_ZN9rocsparseL25kernel_set_identity_arrayILj512EflEEvT1_PT0_: ; @_ZN9rocsparseL25kernel_set_identity_arrayILj512EflEEvT1_PT0_
; %bb.0:
	s_load_dword s7, s[4:5], 0x1c
	s_load_dwordx4 s[0:3], s[4:5], 0x0
	v_mov_b32_e32 v1, 0
	s_waitcnt lgkmcnt(0)
	s_and_b32 s4, s7, 0xffff
	s_mul_i32 s6, s6, s4
	v_add_u32_e32 v0, s6, v0
	v_cmp_gt_i64_e32 vcc, s[0:1], v[0:1]
	s_and_saveexec_b64 s[0:1], vcc
	s_cbranch_execz .LBB66_2
; %bb.1:
	v_lshlrev_b64 v[0:1], 2, v[0:1]
	v_mov_b32_e32 v2, s3
	v_add_co_u32_e32 v0, vcc, s2, v0
	v_addc_co_u32_e32 v1, vcc, v2, v1, vcc
	v_mov_b32_e32 v2, 1.0
	global_store_dword v[0:1], v2, off
.LBB66_2:
	s_endpgm
	.section	.rodata,"a",@progbits
	.p2align	6, 0x0
	.amdhsa_kernel _ZN9rocsparseL25kernel_set_identity_arrayILj512EflEEvT1_PT0_
		.amdhsa_group_segment_fixed_size 0
		.amdhsa_private_segment_fixed_size 0
		.amdhsa_kernarg_size 272
		.amdhsa_user_sgpr_count 6
		.amdhsa_user_sgpr_private_segment_buffer 1
		.amdhsa_user_sgpr_dispatch_ptr 0
		.amdhsa_user_sgpr_queue_ptr 0
		.amdhsa_user_sgpr_kernarg_segment_ptr 1
		.amdhsa_user_sgpr_dispatch_id 0
		.amdhsa_user_sgpr_flat_scratch_init 0
		.amdhsa_user_sgpr_kernarg_preload_length 0
		.amdhsa_user_sgpr_kernarg_preload_offset 0
		.amdhsa_user_sgpr_private_segment_size 0
		.amdhsa_uses_dynamic_stack 0
		.amdhsa_system_sgpr_private_segment_wavefront_offset 0
		.amdhsa_system_sgpr_workgroup_id_x 1
		.amdhsa_system_sgpr_workgroup_id_y 0
		.amdhsa_system_sgpr_workgroup_id_z 0
		.amdhsa_system_sgpr_workgroup_info 0
		.amdhsa_system_vgpr_workitem_id 0
		.amdhsa_next_free_vgpr 3
		.amdhsa_next_free_sgpr 8
		.amdhsa_accum_offset 4
		.amdhsa_reserve_vcc 1
		.amdhsa_reserve_flat_scratch 0
		.amdhsa_float_round_mode_32 0
		.amdhsa_float_round_mode_16_64 0
		.amdhsa_float_denorm_mode_32 3
		.amdhsa_float_denorm_mode_16_64 3
		.amdhsa_dx10_clamp 1
		.amdhsa_ieee_mode 1
		.amdhsa_fp16_overflow 0
		.amdhsa_tg_split 0
		.amdhsa_exception_fp_ieee_invalid_op 0
		.amdhsa_exception_fp_denorm_src 0
		.amdhsa_exception_fp_ieee_div_zero 0
		.amdhsa_exception_fp_ieee_overflow 0
		.amdhsa_exception_fp_ieee_underflow 0
		.amdhsa_exception_fp_ieee_inexact 0
		.amdhsa_exception_int_div_zero 0
	.end_amdhsa_kernel
	.section	.text._ZN9rocsparseL25kernel_set_identity_arrayILj512EflEEvT1_PT0_,"axG",@progbits,_ZN9rocsparseL25kernel_set_identity_arrayILj512EflEEvT1_PT0_,comdat
.Lfunc_end66:
	.size	_ZN9rocsparseL25kernel_set_identity_arrayILj512EflEEvT1_PT0_, .Lfunc_end66-_ZN9rocsparseL25kernel_set_identity_arrayILj512EflEEvT1_PT0_
                                        ; -- End function
	.section	.AMDGPU.csdata,"",@progbits
; Kernel info:
; codeLenInByte = 88
; NumSgprs: 12
; NumVgprs: 3
; NumAgprs: 0
; TotalNumVgprs: 3
; ScratchSize: 0
; MemoryBound: 0
; FloatMode: 240
; IeeeMode: 1
; LDSByteSize: 0 bytes/workgroup (compile time only)
; SGPRBlocks: 1
; VGPRBlocks: 0
; NumSGPRsForWavesPerEU: 12
; NumVGPRsForWavesPerEU: 3
; AccumOffset: 4
; Occupancy: 8
; WaveLimiterHint : 0
; COMPUTE_PGM_RSRC2:SCRATCH_EN: 0
; COMPUTE_PGM_RSRC2:USER_SGPR: 6
; COMPUTE_PGM_RSRC2:TRAP_HANDLER: 0
; COMPUTE_PGM_RSRC2:TGID_X_EN: 1
; COMPUTE_PGM_RSRC2:TGID_Y_EN: 0
; COMPUTE_PGM_RSRC2:TGID_Z_EN: 0
; COMPUTE_PGM_RSRC2:TIDIG_COMP_CNT: 0
; COMPUTE_PGM_RSRC3_GFX90A:ACCUM_OFFSET: 0
; COMPUTE_PGM_RSRC3_GFX90A:TG_SPLIT: 0
	.section	.text._ZN9rocsparseL25kernel_get_permuted_arrayILj512EflEEvT1_PKT0_PS2_PKS1_,"axG",@progbits,_ZN9rocsparseL25kernel_get_permuted_arrayILj512EflEEvT1_PKT0_PS2_PKS1_,comdat
	.globl	_ZN9rocsparseL25kernel_get_permuted_arrayILj512EflEEvT1_PKT0_PS2_PKS1_ ; -- Begin function _ZN9rocsparseL25kernel_get_permuted_arrayILj512EflEEvT1_PKT0_PS2_PKS1_
	.p2align	8
	.type	_ZN9rocsparseL25kernel_get_permuted_arrayILj512EflEEvT1_PKT0_PS2_PKS1_,@function
_ZN9rocsparseL25kernel_get_permuted_arrayILj512EflEEvT1_PKT0_PS2_PKS1_: ; @_ZN9rocsparseL25kernel_get_permuted_arrayILj512EflEEvT1_PKT0_PS2_PKS1_
; %bb.0:
	s_load_dword s0, s[4:5], 0x2c
	s_load_dwordx8 s[8:15], s[4:5], 0x0
	v_mov_b32_e32 v1, 0
	s_waitcnt lgkmcnt(0)
	s_and_b32 s0, s0, 0xffff
	s_mul_i32 s6, s6, s0
	v_add_u32_e32 v0, s6, v0
	v_cmp_gt_i64_e32 vcc, s[8:9], v[0:1]
	s_and_saveexec_b64 s[0:1], vcc
	s_cbranch_execz .LBB67_2
; %bb.1:
	v_lshlrev_b64 v[2:3], 3, v[0:1]
	v_mov_b32_e32 v4, s15
	v_add_co_u32_e32 v2, vcc, s14, v2
	v_addc_co_u32_e32 v3, vcc, v4, v3, vcc
	global_load_dwordx2 v[2:3], v[2:3], off
	v_mov_b32_e32 v4, s11
	v_lshlrev_b64 v[0:1], 2, v[0:1]
	s_waitcnt vmcnt(0)
	v_lshlrev_b64 v[2:3], 2, v[2:3]
	v_add_co_u32_e32 v2, vcc, s10, v2
	v_addc_co_u32_e32 v3, vcc, v4, v3, vcc
	global_load_dword v2, v[2:3], off
	v_mov_b32_e32 v3, s13
	v_add_co_u32_e32 v0, vcc, s12, v0
	v_addc_co_u32_e32 v1, vcc, v3, v1, vcc
	s_waitcnt vmcnt(0)
	global_store_dword v[0:1], v2, off
.LBB67_2:
	s_endpgm
	.section	.rodata,"a",@progbits
	.p2align	6, 0x0
	.amdhsa_kernel _ZN9rocsparseL25kernel_get_permuted_arrayILj512EflEEvT1_PKT0_PS2_PKS1_
		.amdhsa_group_segment_fixed_size 0
		.amdhsa_private_segment_fixed_size 0
		.amdhsa_kernarg_size 288
		.amdhsa_user_sgpr_count 6
		.amdhsa_user_sgpr_private_segment_buffer 1
		.amdhsa_user_sgpr_dispatch_ptr 0
		.amdhsa_user_sgpr_queue_ptr 0
		.amdhsa_user_sgpr_kernarg_segment_ptr 1
		.amdhsa_user_sgpr_dispatch_id 0
		.amdhsa_user_sgpr_flat_scratch_init 0
		.amdhsa_user_sgpr_kernarg_preload_length 0
		.amdhsa_user_sgpr_kernarg_preload_offset 0
		.amdhsa_user_sgpr_private_segment_size 0
		.amdhsa_uses_dynamic_stack 0
		.amdhsa_system_sgpr_private_segment_wavefront_offset 0
		.amdhsa_system_sgpr_workgroup_id_x 1
		.amdhsa_system_sgpr_workgroup_id_y 0
		.amdhsa_system_sgpr_workgroup_id_z 0
		.amdhsa_system_sgpr_workgroup_info 0
		.amdhsa_system_vgpr_workitem_id 0
		.amdhsa_next_free_vgpr 5
		.amdhsa_next_free_sgpr 16
		.amdhsa_accum_offset 8
		.amdhsa_reserve_vcc 1
		.amdhsa_reserve_flat_scratch 0
		.amdhsa_float_round_mode_32 0
		.amdhsa_float_round_mode_16_64 0
		.amdhsa_float_denorm_mode_32 3
		.amdhsa_float_denorm_mode_16_64 3
		.amdhsa_dx10_clamp 1
		.amdhsa_ieee_mode 1
		.amdhsa_fp16_overflow 0
		.amdhsa_tg_split 0
		.amdhsa_exception_fp_ieee_invalid_op 0
		.amdhsa_exception_fp_denorm_src 0
		.amdhsa_exception_fp_ieee_div_zero 0
		.amdhsa_exception_fp_ieee_overflow 0
		.amdhsa_exception_fp_ieee_underflow 0
		.amdhsa_exception_fp_ieee_inexact 0
		.amdhsa_exception_int_div_zero 0
	.end_amdhsa_kernel
	.section	.text._ZN9rocsparseL25kernel_get_permuted_arrayILj512EflEEvT1_PKT0_PS2_PKS1_,"axG",@progbits,_ZN9rocsparseL25kernel_get_permuted_arrayILj512EflEEvT1_PKT0_PS2_PKS1_,comdat
.Lfunc_end67:
	.size	_ZN9rocsparseL25kernel_get_permuted_arrayILj512EflEEvT1_PKT0_PS2_PKS1_, .Lfunc_end67-_ZN9rocsparseL25kernel_get_permuted_arrayILj512EflEEvT1_PKT0_PS2_PKS1_
                                        ; -- End function
	.section	.AMDGPU.csdata,"",@progbits
; Kernel info:
; codeLenInByte = 148
; NumSgprs: 20
; NumVgprs: 5
; NumAgprs: 0
; TotalNumVgprs: 5
; ScratchSize: 0
; MemoryBound: 0
; FloatMode: 240
; IeeeMode: 1
; LDSByteSize: 0 bytes/workgroup (compile time only)
; SGPRBlocks: 2
; VGPRBlocks: 0
; NumSGPRsForWavesPerEU: 20
; NumVGPRsForWavesPerEU: 5
; AccumOffset: 8
; Occupancy: 8
; WaveLimiterHint : 1
; COMPUTE_PGM_RSRC2:SCRATCH_EN: 0
; COMPUTE_PGM_RSRC2:USER_SGPR: 6
; COMPUTE_PGM_RSRC2:TRAP_HANDLER: 0
; COMPUTE_PGM_RSRC2:TGID_X_EN: 1
; COMPUTE_PGM_RSRC2:TGID_Y_EN: 0
; COMPUTE_PGM_RSRC2:TGID_Z_EN: 0
; COMPUTE_PGM_RSRC2:TIDIG_COMP_CNT: 0
; COMPUTE_PGM_RSRC3_GFX90A:ACCUM_OFFSET: 1
; COMPUTE_PGM_RSRC3_GFX90A:TG_SPLIT: 0
	.section	.text._ZN9rocsparseL25kernel_set_permuted_arrayILj512EflEEvT1_PT0_PKS2_PKS1_,"axG",@progbits,_ZN9rocsparseL25kernel_set_permuted_arrayILj512EflEEvT1_PT0_PKS2_PKS1_,comdat
	.globl	_ZN9rocsparseL25kernel_set_permuted_arrayILj512EflEEvT1_PT0_PKS2_PKS1_ ; -- Begin function _ZN9rocsparseL25kernel_set_permuted_arrayILj512EflEEvT1_PT0_PKS2_PKS1_
	.p2align	8
	.type	_ZN9rocsparseL25kernel_set_permuted_arrayILj512EflEEvT1_PT0_PKS2_PKS1_,@function
_ZN9rocsparseL25kernel_set_permuted_arrayILj512EflEEvT1_PT0_PKS2_PKS1_: ; @_ZN9rocsparseL25kernel_set_permuted_arrayILj512EflEEvT1_PT0_PKS2_PKS1_
; %bb.0:
	s_load_dword s0, s[4:5], 0x2c
	s_load_dwordx8 s[8:15], s[4:5], 0x0
	v_mov_b32_e32 v1, 0
	s_waitcnt lgkmcnt(0)
	s_and_b32 s0, s0, 0xffff
	s_mul_i32 s6, s6, s0
	v_add_u32_e32 v0, s6, v0
	v_cmp_gt_i64_e32 vcc, s[8:9], v[0:1]
	s_and_saveexec_b64 s[0:1], vcc
	s_cbranch_execz .LBB68_2
; %bb.1:
	v_lshlrev_b64 v[2:3], 3, v[0:1]
	v_mov_b32_e32 v4, s15
	v_add_co_u32_e32 v2, vcc, s14, v2
	v_addc_co_u32_e32 v3, vcc, v4, v3, vcc
	v_lshlrev_b64 v[0:1], 2, v[0:1]
	global_load_dwordx2 v[2:3], v[2:3], off
	v_mov_b32_e32 v4, s13
	v_add_co_u32_e32 v0, vcc, s12, v0
	v_addc_co_u32_e32 v1, vcc, v4, v1, vcc
	global_load_dword v4, v[0:1], off
	v_mov_b32_e32 v5, s11
	s_waitcnt vmcnt(1)
	v_lshlrev_b64 v[0:1], 2, v[2:3]
	v_add_co_u32_e32 v0, vcc, s10, v0
	v_addc_co_u32_e32 v1, vcc, v5, v1, vcc
	s_waitcnt vmcnt(0)
	global_store_dword v[0:1], v4, off
.LBB68_2:
	s_endpgm
	.section	.rodata,"a",@progbits
	.p2align	6, 0x0
	.amdhsa_kernel _ZN9rocsparseL25kernel_set_permuted_arrayILj512EflEEvT1_PT0_PKS2_PKS1_
		.amdhsa_group_segment_fixed_size 0
		.amdhsa_private_segment_fixed_size 0
		.amdhsa_kernarg_size 288
		.amdhsa_user_sgpr_count 6
		.amdhsa_user_sgpr_private_segment_buffer 1
		.amdhsa_user_sgpr_dispatch_ptr 0
		.amdhsa_user_sgpr_queue_ptr 0
		.amdhsa_user_sgpr_kernarg_segment_ptr 1
		.amdhsa_user_sgpr_dispatch_id 0
		.amdhsa_user_sgpr_flat_scratch_init 0
		.amdhsa_user_sgpr_kernarg_preload_length 0
		.amdhsa_user_sgpr_kernarg_preload_offset 0
		.amdhsa_user_sgpr_private_segment_size 0
		.amdhsa_uses_dynamic_stack 0
		.amdhsa_system_sgpr_private_segment_wavefront_offset 0
		.amdhsa_system_sgpr_workgroup_id_x 1
		.amdhsa_system_sgpr_workgroup_id_y 0
		.amdhsa_system_sgpr_workgroup_id_z 0
		.amdhsa_system_sgpr_workgroup_info 0
		.amdhsa_system_vgpr_workitem_id 0
		.amdhsa_next_free_vgpr 6
		.amdhsa_next_free_sgpr 16
		.amdhsa_accum_offset 8
		.amdhsa_reserve_vcc 1
		.amdhsa_reserve_flat_scratch 0
		.amdhsa_float_round_mode_32 0
		.amdhsa_float_round_mode_16_64 0
		.amdhsa_float_denorm_mode_32 3
		.amdhsa_float_denorm_mode_16_64 3
		.amdhsa_dx10_clamp 1
		.amdhsa_ieee_mode 1
		.amdhsa_fp16_overflow 0
		.amdhsa_tg_split 0
		.amdhsa_exception_fp_ieee_invalid_op 0
		.amdhsa_exception_fp_denorm_src 0
		.amdhsa_exception_fp_ieee_div_zero 0
		.amdhsa_exception_fp_ieee_overflow 0
		.amdhsa_exception_fp_ieee_underflow 0
		.amdhsa_exception_fp_ieee_inexact 0
		.amdhsa_exception_int_div_zero 0
	.end_amdhsa_kernel
	.section	.text._ZN9rocsparseL25kernel_set_permuted_arrayILj512EflEEvT1_PT0_PKS2_PKS1_,"axG",@progbits,_ZN9rocsparseL25kernel_set_permuted_arrayILj512EflEEvT1_PT0_PKS2_PKS1_,comdat
.Lfunc_end68:
	.size	_ZN9rocsparseL25kernel_set_permuted_arrayILj512EflEEvT1_PT0_PKS2_PKS1_, .Lfunc_end68-_ZN9rocsparseL25kernel_set_permuted_arrayILj512EflEEvT1_PT0_PKS2_PKS1_
                                        ; -- End function
	.section	.AMDGPU.csdata,"",@progbits
; Kernel info:
; codeLenInByte = 148
; NumSgprs: 20
; NumVgprs: 6
; NumAgprs: 0
; TotalNumVgprs: 6
; ScratchSize: 0
; MemoryBound: 0
; FloatMode: 240
; IeeeMode: 1
; LDSByteSize: 0 bytes/workgroup (compile time only)
; SGPRBlocks: 2
; VGPRBlocks: 0
; NumSGPRsForWavesPerEU: 20
; NumVGPRsForWavesPerEU: 6
; AccumOffset: 8
; Occupancy: 8
; WaveLimiterHint : 1
; COMPUTE_PGM_RSRC2:SCRATCH_EN: 0
; COMPUTE_PGM_RSRC2:USER_SGPR: 6
; COMPUTE_PGM_RSRC2:TRAP_HANDLER: 0
; COMPUTE_PGM_RSRC2:TGID_X_EN: 1
; COMPUTE_PGM_RSRC2:TGID_Y_EN: 0
; COMPUTE_PGM_RSRC2:TGID_Z_EN: 0
; COMPUTE_PGM_RSRC2:TIDIG_COMP_CNT: 0
; COMPUTE_PGM_RSRC3_GFX90A:ACCUM_OFFSET: 1
; COMPUTE_PGM_RSRC3_GFX90A:TG_SPLIT: 0
	.section	.text._ZN9rocsparseL25kernel_set_identity_arrayILj512EdlEEvT1_PT0_,"axG",@progbits,_ZN9rocsparseL25kernel_set_identity_arrayILj512EdlEEvT1_PT0_,comdat
	.globl	_ZN9rocsparseL25kernel_set_identity_arrayILj512EdlEEvT1_PT0_ ; -- Begin function _ZN9rocsparseL25kernel_set_identity_arrayILj512EdlEEvT1_PT0_
	.p2align	8
	.type	_ZN9rocsparseL25kernel_set_identity_arrayILj512EdlEEvT1_PT0_,@function
_ZN9rocsparseL25kernel_set_identity_arrayILj512EdlEEvT1_PT0_: ; @_ZN9rocsparseL25kernel_set_identity_arrayILj512EdlEEvT1_PT0_
; %bb.0:
	s_load_dword s7, s[4:5], 0x1c
	s_load_dwordx4 s[0:3], s[4:5], 0x0
	v_mov_b32_e32 v1, 0
	s_waitcnt lgkmcnt(0)
	s_and_b32 s4, s7, 0xffff
	s_mul_i32 s6, s6, s4
	v_add_u32_e32 v0, s6, v0
	v_cmp_gt_i64_e32 vcc, s[0:1], v[0:1]
	s_and_saveexec_b64 s[0:1], vcc
	s_cbranch_execz .LBB69_2
; %bb.1:
	v_lshlrev_b64 v[2:3], 3, v[0:1]
	v_mov_b32_e32 v0, s3
	v_add_co_u32_e32 v2, vcc, s2, v2
	v_addc_co_u32_e32 v3, vcc, v0, v3, vcc
	v_mov_b32_e32 v5, 0x3ff00000
	v_mov_b32_e32 v4, v1
	global_store_dwordx2 v[2:3], v[4:5], off
.LBB69_2:
	s_endpgm
	.section	.rodata,"a",@progbits
	.p2align	6, 0x0
	.amdhsa_kernel _ZN9rocsparseL25kernel_set_identity_arrayILj512EdlEEvT1_PT0_
		.amdhsa_group_segment_fixed_size 0
		.amdhsa_private_segment_fixed_size 0
		.amdhsa_kernarg_size 272
		.amdhsa_user_sgpr_count 6
		.amdhsa_user_sgpr_private_segment_buffer 1
		.amdhsa_user_sgpr_dispatch_ptr 0
		.amdhsa_user_sgpr_queue_ptr 0
		.amdhsa_user_sgpr_kernarg_segment_ptr 1
		.amdhsa_user_sgpr_dispatch_id 0
		.amdhsa_user_sgpr_flat_scratch_init 0
		.amdhsa_user_sgpr_kernarg_preload_length 0
		.amdhsa_user_sgpr_kernarg_preload_offset 0
		.amdhsa_user_sgpr_private_segment_size 0
		.amdhsa_uses_dynamic_stack 0
		.amdhsa_system_sgpr_private_segment_wavefront_offset 0
		.amdhsa_system_sgpr_workgroup_id_x 1
		.amdhsa_system_sgpr_workgroup_id_y 0
		.amdhsa_system_sgpr_workgroup_id_z 0
		.amdhsa_system_sgpr_workgroup_info 0
		.amdhsa_system_vgpr_workitem_id 0
		.amdhsa_next_free_vgpr 6
		.amdhsa_next_free_sgpr 8
		.amdhsa_accum_offset 8
		.amdhsa_reserve_vcc 1
		.amdhsa_reserve_flat_scratch 0
		.amdhsa_float_round_mode_32 0
		.amdhsa_float_round_mode_16_64 0
		.amdhsa_float_denorm_mode_32 3
		.amdhsa_float_denorm_mode_16_64 3
		.amdhsa_dx10_clamp 1
		.amdhsa_ieee_mode 1
		.amdhsa_fp16_overflow 0
		.amdhsa_tg_split 0
		.amdhsa_exception_fp_ieee_invalid_op 0
		.amdhsa_exception_fp_denorm_src 0
		.amdhsa_exception_fp_ieee_div_zero 0
		.amdhsa_exception_fp_ieee_overflow 0
		.amdhsa_exception_fp_ieee_underflow 0
		.amdhsa_exception_fp_ieee_inexact 0
		.amdhsa_exception_int_div_zero 0
	.end_amdhsa_kernel
	.section	.text._ZN9rocsparseL25kernel_set_identity_arrayILj512EdlEEvT1_PT0_,"axG",@progbits,_ZN9rocsparseL25kernel_set_identity_arrayILj512EdlEEvT1_PT0_,comdat
.Lfunc_end69:
	.size	_ZN9rocsparseL25kernel_set_identity_arrayILj512EdlEEvT1_PT0_, .Lfunc_end69-_ZN9rocsparseL25kernel_set_identity_arrayILj512EdlEEvT1_PT0_
                                        ; -- End function
	.section	.AMDGPU.csdata,"",@progbits
; Kernel info:
; codeLenInByte = 96
; NumSgprs: 12
; NumVgprs: 6
; NumAgprs: 0
; TotalNumVgprs: 6
; ScratchSize: 0
; MemoryBound: 0
; FloatMode: 240
; IeeeMode: 1
; LDSByteSize: 0 bytes/workgroup (compile time only)
; SGPRBlocks: 1
; VGPRBlocks: 0
; NumSGPRsForWavesPerEU: 12
; NumVGPRsForWavesPerEU: 6
; AccumOffset: 8
; Occupancy: 8
; WaveLimiterHint : 0
; COMPUTE_PGM_RSRC2:SCRATCH_EN: 0
; COMPUTE_PGM_RSRC2:USER_SGPR: 6
; COMPUTE_PGM_RSRC2:TRAP_HANDLER: 0
; COMPUTE_PGM_RSRC2:TGID_X_EN: 1
; COMPUTE_PGM_RSRC2:TGID_Y_EN: 0
; COMPUTE_PGM_RSRC2:TGID_Z_EN: 0
; COMPUTE_PGM_RSRC2:TIDIG_COMP_CNT: 0
; COMPUTE_PGM_RSRC3_GFX90A:ACCUM_OFFSET: 1
; COMPUTE_PGM_RSRC3_GFX90A:TG_SPLIT: 0
	.section	.text._ZN9rocsparseL25kernel_get_permuted_arrayILj512EdlEEvT1_PKT0_PS2_PKS1_,"axG",@progbits,_ZN9rocsparseL25kernel_get_permuted_arrayILj512EdlEEvT1_PKT0_PS2_PKS1_,comdat
	.globl	_ZN9rocsparseL25kernel_get_permuted_arrayILj512EdlEEvT1_PKT0_PS2_PKS1_ ; -- Begin function _ZN9rocsparseL25kernel_get_permuted_arrayILj512EdlEEvT1_PKT0_PS2_PKS1_
	.p2align	8
	.type	_ZN9rocsparseL25kernel_get_permuted_arrayILj512EdlEEvT1_PKT0_PS2_PKS1_,@function
_ZN9rocsparseL25kernel_get_permuted_arrayILj512EdlEEvT1_PKT0_PS2_PKS1_: ; @_ZN9rocsparseL25kernel_get_permuted_arrayILj512EdlEEvT1_PKT0_PS2_PKS1_
; %bb.0:
	s_load_dword s0, s[4:5], 0x2c
	s_load_dwordx8 s[8:15], s[4:5], 0x0
	v_mov_b32_e32 v1, 0
	s_waitcnt lgkmcnt(0)
	s_and_b32 s0, s0, 0xffff
	s_mul_i32 s6, s6, s0
	v_add_u32_e32 v0, s6, v0
	v_cmp_gt_i64_e32 vcc, s[8:9], v[0:1]
	s_and_saveexec_b64 s[0:1], vcc
	s_cbranch_execz .LBB70_2
; %bb.1:
	v_lshlrev_b64 v[0:1], 3, v[0:1]
	v_mov_b32_e32 v3, s15
	v_add_co_u32_e32 v2, vcc, s14, v0
	v_addc_co_u32_e32 v3, vcc, v3, v1, vcc
	global_load_dwordx2 v[2:3], v[2:3], off
	v_mov_b32_e32 v4, s11
	s_waitcnt vmcnt(0)
	v_lshlrev_b64 v[2:3], 3, v[2:3]
	v_add_co_u32_e32 v2, vcc, s10, v2
	v_addc_co_u32_e32 v3, vcc, v4, v3, vcc
	global_load_dwordx2 v[2:3], v[2:3], off
	v_mov_b32_e32 v4, s13
	v_add_co_u32_e32 v0, vcc, s12, v0
	v_addc_co_u32_e32 v1, vcc, v4, v1, vcc
	s_waitcnt vmcnt(0)
	global_store_dwordx2 v[0:1], v[2:3], off
.LBB70_2:
	s_endpgm
	.section	.rodata,"a",@progbits
	.p2align	6, 0x0
	.amdhsa_kernel _ZN9rocsparseL25kernel_get_permuted_arrayILj512EdlEEvT1_PKT0_PS2_PKS1_
		.amdhsa_group_segment_fixed_size 0
		.amdhsa_private_segment_fixed_size 0
		.amdhsa_kernarg_size 288
		.amdhsa_user_sgpr_count 6
		.amdhsa_user_sgpr_private_segment_buffer 1
		.amdhsa_user_sgpr_dispatch_ptr 0
		.amdhsa_user_sgpr_queue_ptr 0
		.amdhsa_user_sgpr_kernarg_segment_ptr 1
		.amdhsa_user_sgpr_dispatch_id 0
		.amdhsa_user_sgpr_flat_scratch_init 0
		.amdhsa_user_sgpr_kernarg_preload_length 0
		.amdhsa_user_sgpr_kernarg_preload_offset 0
		.amdhsa_user_sgpr_private_segment_size 0
		.amdhsa_uses_dynamic_stack 0
		.amdhsa_system_sgpr_private_segment_wavefront_offset 0
		.amdhsa_system_sgpr_workgroup_id_x 1
		.amdhsa_system_sgpr_workgroup_id_y 0
		.amdhsa_system_sgpr_workgroup_id_z 0
		.amdhsa_system_sgpr_workgroup_info 0
		.amdhsa_system_vgpr_workitem_id 0
		.amdhsa_next_free_vgpr 5
		.amdhsa_next_free_sgpr 16
		.amdhsa_accum_offset 8
		.amdhsa_reserve_vcc 1
		.amdhsa_reserve_flat_scratch 0
		.amdhsa_float_round_mode_32 0
		.amdhsa_float_round_mode_16_64 0
		.amdhsa_float_denorm_mode_32 3
		.amdhsa_float_denorm_mode_16_64 3
		.amdhsa_dx10_clamp 1
		.amdhsa_ieee_mode 1
		.amdhsa_fp16_overflow 0
		.amdhsa_tg_split 0
		.amdhsa_exception_fp_ieee_invalid_op 0
		.amdhsa_exception_fp_denorm_src 0
		.amdhsa_exception_fp_ieee_div_zero 0
		.amdhsa_exception_fp_ieee_overflow 0
		.amdhsa_exception_fp_ieee_underflow 0
		.amdhsa_exception_fp_ieee_inexact 0
		.amdhsa_exception_int_div_zero 0
	.end_amdhsa_kernel
	.section	.text._ZN9rocsparseL25kernel_get_permuted_arrayILj512EdlEEvT1_PKT0_PS2_PKS1_,"axG",@progbits,_ZN9rocsparseL25kernel_get_permuted_arrayILj512EdlEEvT1_PKT0_PS2_PKS1_,comdat
.Lfunc_end70:
	.size	_ZN9rocsparseL25kernel_get_permuted_arrayILj512EdlEEvT1_PKT0_PS2_PKS1_, .Lfunc_end70-_ZN9rocsparseL25kernel_get_permuted_arrayILj512EdlEEvT1_PKT0_PS2_PKS1_
                                        ; -- End function
	.section	.AMDGPU.csdata,"",@progbits
; Kernel info:
; codeLenInByte = 140
; NumSgprs: 20
; NumVgprs: 5
; NumAgprs: 0
; TotalNumVgprs: 5
; ScratchSize: 0
; MemoryBound: 0
; FloatMode: 240
; IeeeMode: 1
; LDSByteSize: 0 bytes/workgroup (compile time only)
; SGPRBlocks: 2
; VGPRBlocks: 0
; NumSGPRsForWavesPerEU: 20
; NumVGPRsForWavesPerEU: 5
; AccumOffset: 8
; Occupancy: 8
; WaveLimiterHint : 1
; COMPUTE_PGM_RSRC2:SCRATCH_EN: 0
; COMPUTE_PGM_RSRC2:USER_SGPR: 6
; COMPUTE_PGM_RSRC2:TRAP_HANDLER: 0
; COMPUTE_PGM_RSRC2:TGID_X_EN: 1
; COMPUTE_PGM_RSRC2:TGID_Y_EN: 0
; COMPUTE_PGM_RSRC2:TGID_Z_EN: 0
; COMPUTE_PGM_RSRC2:TIDIG_COMP_CNT: 0
; COMPUTE_PGM_RSRC3_GFX90A:ACCUM_OFFSET: 1
; COMPUTE_PGM_RSRC3_GFX90A:TG_SPLIT: 0
	.section	.text._ZN9rocsparseL25kernel_set_permuted_arrayILj512EdlEEvT1_PT0_PKS2_PKS1_,"axG",@progbits,_ZN9rocsparseL25kernel_set_permuted_arrayILj512EdlEEvT1_PT0_PKS2_PKS1_,comdat
	.globl	_ZN9rocsparseL25kernel_set_permuted_arrayILj512EdlEEvT1_PT0_PKS2_PKS1_ ; -- Begin function _ZN9rocsparseL25kernel_set_permuted_arrayILj512EdlEEvT1_PT0_PKS2_PKS1_
	.p2align	8
	.type	_ZN9rocsparseL25kernel_set_permuted_arrayILj512EdlEEvT1_PT0_PKS2_PKS1_,@function
_ZN9rocsparseL25kernel_set_permuted_arrayILj512EdlEEvT1_PT0_PKS2_PKS1_: ; @_ZN9rocsparseL25kernel_set_permuted_arrayILj512EdlEEvT1_PT0_PKS2_PKS1_
; %bb.0:
	s_load_dword s0, s[4:5], 0x2c
	s_load_dwordx8 s[8:15], s[4:5], 0x0
	v_mov_b32_e32 v1, 0
	s_waitcnt lgkmcnt(0)
	s_and_b32 s0, s0, 0xffff
	s_mul_i32 s6, s6, s0
	v_add_u32_e32 v0, s6, v0
	v_cmp_gt_i64_e32 vcc, s[8:9], v[0:1]
	s_and_saveexec_b64 s[0:1], vcc
	s_cbranch_execz .LBB71_2
; %bb.1:
	v_lshlrev_b64 v[0:1], 3, v[0:1]
	v_mov_b32_e32 v3, s15
	v_add_co_u32_e32 v2, vcc, s14, v0
	v_addc_co_u32_e32 v3, vcc, v3, v1, vcc
	global_load_dwordx2 v[2:3], v[2:3], off
	v_mov_b32_e32 v4, s13
	v_add_co_u32_e32 v0, vcc, s12, v0
	v_addc_co_u32_e32 v1, vcc, v4, v1, vcc
	global_load_dwordx2 v[0:1], v[0:1], off
	v_mov_b32_e32 v4, s11
	s_waitcnt vmcnt(1)
	v_lshlrev_b64 v[2:3], 3, v[2:3]
	v_add_co_u32_e32 v2, vcc, s10, v2
	v_addc_co_u32_e32 v3, vcc, v4, v3, vcc
	s_waitcnt vmcnt(0)
	global_store_dwordx2 v[2:3], v[0:1], off
.LBB71_2:
	s_endpgm
	.section	.rodata,"a",@progbits
	.p2align	6, 0x0
	.amdhsa_kernel _ZN9rocsparseL25kernel_set_permuted_arrayILj512EdlEEvT1_PT0_PKS2_PKS1_
		.amdhsa_group_segment_fixed_size 0
		.amdhsa_private_segment_fixed_size 0
		.amdhsa_kernarg_size 288
		.amdhsa_user_sgpr_count 6
		.amdhsa_user_sgpr_private_segment_buffer 1
		.amdhsa_user_sgpr_dispatch_ptr 0
		.amdhsa_user_sgpr_queue_ptr 0
		.amdhsa_user_sgpr_kernarg_segment_ptr 1
		.amdhsa_user_sgpr_dispatch_id 0
		.amdhsa_user_sgpr_flat_scratch_init 0
		.amdhsa_user_sgpr_kernarg_preload_length 0
		.amdhsa_user_sgpr_kernarg_preload_offset 0
		.amdhsa_user_sgpr_private_segment_size 0
		.amdhsa_uses_dynamic_stack 0
		.amdhsa_system_sgpr_private_segment_wavefront_offset 0
		.amdhsa_system_sgpr_workgroup_id_x 1
		.amdhsa_system_sgpr_workgroup_id_y 0
		.amdhsa_system_sgpr_workgroup_id_z 0
		.amdhsa_system_sgpr_workgroup_info 0
		.amdhsa_system_vgpr_workitem_id 0
		.amdhsa_next_free_vgpr 5
		.amdhsa_next_free_sgpr 16
		.amdhsa_accum_offset 8
		.amdhsa_reserve_vcc 1
		.amdhsa_reserve_flat_scratch 0
		.amdhsa_float_round_mode_32 0
		.amdhsa_float_round_mode_16_64 0
		.amdhsa_float_denorm_mode_32 3
		.amdhsa_float_denorm_mode_16_64 3
		.amdhsa_dx10_clamp 1
		.amdhsa_ieee_mode 1
		.amdhsa_fp16_overflow 0
		.amdhsa_tg_split 0
		.amdhsa_exception_fp_ieee_invalid_op 0
		.amdhsa_exception_fp_denorm_src 0
		.amdhsa_exception_fp_ieee_div_zero 0
		.amdhsa_exception_fp_ieee_overflow 0
		.amdhsa_exception_fp_ieee_underflow 0
		.amdhsa_exception_fp_ieee_inexact 0
		.amdhsa_exception_int_div_zero 0
	.end_amdhsa_kernel
	.section	.text._ZN9rocsparseL25kernel_set_permuted_arrayILj512EdlEEvT1_PT0_PKS2_PKS1_,"axG",@progbits,_ZN9rocsparseL25kernel_set_permuted_arrayILj512EdlEEvT1_PT0_PKS2_PKS1_,comdat
.Lfunc_end71:
	.size	_ZN9rocsparseL25kernel_set_permuted_arrayILj512EdlEEvT1_PT0_PKS2_PKS1_, .Lfunc_end71-_ZN9rocsparseL25kernel_set_permuted_arrayILj512EdlEEvT1_PT0_PKS2_PKS1_
                                        ; -- End function
	.section	.AMDGPU.csdata,"",@progbits
; Kernel info:
; codeLenInByte = 140
; NumSgprs: 20
; NumVgprs: 5
; NumAgprs: 0
; TotalNumVgprs: 5
; ScratchSize: 0
; MemoryBound: 0
; FloatMode: 240
; IeeeMode: 1
; LDSByteSize: 0 bytes/workgroup (compile time only)
; SGPRBlocks: 2
; VGPRBlocks: 0
; NumSGPRsForWavesPerEU: 20
; NumVGPRsForWavesPerEU: 5
; AccumOffset: 8
; Occupancy: 8
; WaveLimiterHint : 1
; COMPUTE_PGM_RSRC2:SCRATCH_EN: 0
; COMPUTE_PGM_RSRC2:USER_SGPR: 6
; COMPUTE_PGM_RSRC2:TRAP_HANDLER: 0
; COMPUTE_PGM_RSRC2:TGID_X_EN: 1
; COMPUTE_PGM_RSRC2:TGID_Y_EN: 0
; COMPUTE_PGM_RSRC2:TGID_Z_EN: 0
; COMPUTE_PGM_RSRC2:TIDIG_COMP_CNT: 0
; COMPUTE_PGM_RSRC3_GFX90A:ACCUM_OFFSET: 1
; COMPUTE_PGM_RSRC3_GFX90A:TG_SPLIT: 0
	.section	.text._ZN9rocsparseL25kernel_set_identity_arrayILj512E21rocsparse_complex_numIfElEEvT1_PT0_,"axG",@progbits,_ZN9rocsparseL25kernel_set_identity_arrayILj512E21rocsparse_complex_numIfElEEvT1_PT0_,comdat
	.globl	_ZN9rocsparseL25kernel_set_identity_arrayILj512E21rocsparse_complex_numIfElEEvT1_PT0_ ; -- Begin function _ZN9rocsparseL25kernel_set_identity_arrayILj512E21rocsparse_complex_numIfElEEvT1_PT0_
	.p2align	8
	.type	_ZN9rocsparseL25kernel_set_identity_arrayILj512E21rocsparse_complex_numIfElEEvT1_PT0_,@function
_ZN9rocsparseL25kernel_set_identity_arrayILj512E21rocsparse_complex_numIfElEEvT1_PT0_: ; @_ZN9rocsparseL25kernel_set_identity_arrayILj512E21rocsparse_complex_numIfElEEvT1_PT0_
; %bb.0:
	s_load_dword s7, s[4:5], 0x1c
	s_load_dwordx4 s[0:3], s[4:5], 0x0
	v_mov_b32_e32 v1, 0
	s_waitcnt lgkmcnt(0)
	s_and_b32 s4, s7, 0xffff
	s_mul_i32 s6, s6, s4
	v_add_u32_e32 v0, s6, v0
	v_cmp_gt_i64_e32 vcc, s[0:1], v[0:1]
	s_and_saveexec_b64 s[0:1], vcc
	s_cbranch_execz .LBB72_2
; %bb.1:
	v_lshlrev_b64 v[2:3], 3, v[0:1]
	v_mov_b32_e32 v0, s3
	v_add_co_u32_e32 v2, vcc, s2, v2
	v_addc_co_u32_e32 v3, vcc, v0, v3, vcc
	v_mov_b32_e32 v0, 1.0
	global_store_dwordx2 v[2:3], v[0:1], off
.LBB72_2:
	s_endpgm
	.section	.rodata,"a",@progbits
	.p2align	6, 0x0
	.amdhsa_kernel _ZN9rocsparseL25kernel_set_identity_arrayILj512E21rocsparse_complex_numIfElEEvT1_PT0_
		.amdhsa_group_segment_fixed_size 0
		.amdhsa_private_segment_fixed_size 0
		.amdhsa_kernarg_size 272
		.amdhsa_user_sgpr_count 6
		.amdhsa_user_sgpr_private_segment_buffer 1
		.amdhsa_user_sgpr_dispatch_ptr 0
		.amdhsa_user_sgpr_queue_ptr 0
		.amdhsa_user_sgpr_kernarg_segment_ptr 1
		.amdhsa_user_sgpr_dispatch_id 0
		.amdhsa_user_sgpr_flat_scratch_init 0
		.amdhsa_user_sgpr_kernarg_preload_length 0
		.amdhsa_user_sgpr_kernarg_preload_offset 0
		.amdhsa_user_sgpr_private_segment_size 0
		.amdhsa_uses_dynamic_stack 0
		.amdhsa_system_sgpr_private_segment_wavefront_offset 0
		.amdhsa_system_sgpr_workgroup_id_x 1
		.amdhsa_system_sgpr_workgroup_id_y 0
		.amdhsa_system_sgpr_workgroup_id_z 0
		.amdhsa_system_sgpr_workgroup_info 0
		.amdhsa_system_vgpr_workitem_id 0
		.amdhsa_next_free_vgpr 4
		.amdhsa_next_free_sgpr 8
		.amdhsa_accum_offset 4
		.amdhsa_reserve_vcc 1
		.amdhsa_reserve_flat_scratch 0
		.amdhsa_float_round_mode_32 0
		.amdhsa_float_round_mode_16_64 0
		.amdhsa_float_denorm_mode_32 3
		.amdhsa_float_denorm_mode_16_64 3
		.amdhsa_dx10_clamp 1
		.amdhsa_ieee_mode 1
		.amdhsa_fp16_overflow 0
		.amdhsa_tg_split 0
		.amdhsa_exception_fp_ieee_invalid_op 0
		.amdhsa_exception_fp_denorm_src 0
		.amdhsa_exception_fp_ieee_div_zero 0
		.amdhsa_exception_fp_ieee_overflow 0
		.amdhsa_exception_fp_ieee_underflow 0
		.amdhsa_exception_fp_ieee_inexact 0
		.amdhsa_exception_int_div_zero 0
	.end_amdhsa_kernel
	.section	.text._ZN9rocsparseL25kernel_set_identity_arrayILj512E21rocsparse_complex_numIfElEEvT1_PT0_,"axG",@progbits,_ZN9rocsparseL25kernel_set_identity_arrayILj512E21rocsparse_complex_numIfElEEvT1_PT0_,comdat
.Lfunc_end72:
	.size	_ZN9rocsparseL25kernel_set_identity_arrayILj512E21rocsparse_complex_numIfElEEvT1_PT0_, .Lfunc_end72-_ZN9rocsparseL25kernel_set_identity_arrayILj512E21rocsparse_complex_numIfElEEvT1_PT0_
                                        ; -- End function
	.section	.AMDGPU.csdata,"",@progbits
; Kernel info:
; codeLenInByte = 88
; NumSgprs: 12
; NumVgprs: 4
; NumAgprs: 0
; TotalNumVgprs: 4
; ScratchSize: 0
; MemoryBound: 0
; FloatMode: 240
; IeeeMode: 1
; LDSByteSize: 0 bytes/workgroup (compile time only)
; SGPRBlocks: 1
; VGPRBlocks: 0
; NumSGPRsForWavesPerEU: 12
; NumVGPRsForWavesPerEU: 4
; AccumOffset: 4
; Occupancy: 8
; WaveLimiterHint : 0
; COMPUTE_PGM_RSRC2:SCRATCH_EN: 0
; COMPUTE_PGM_RSRC2:USER_SGPR: 6
; COMPUTE_PGM_RSRC2:TRAP_HANDLER: 0
; COMPUTE_PGM_RSRC2:TGID_X_EN: 1
; COMPUTE_PGM_RSRC2:TGID_Y_EN: 0
; COMPUTE_PGM_RSRC2:TGID_Z_EN: 0
; COMPUTE_PGM_RSRC2:TIDIG_COMP_CNT: 0
; COMPUTE_PGM_RSRC3_GFX90A:ACCUM_OFFSET: 0
; COMPUTE_PGM_RSRC3_GFX90A:TG_SPLIT: 0
	.section	.text._ZN9rocsparseL25kernel_get_permuted_arrayILj512E21rocsparse_complex_numIfElEEvT1_PKT0_PS4_PKS3_,"axG",@progbits,_ZN9rocsparseL25kernel_get_permuted_arrayILj512E21rocsparse_complex_numIfElEEvT1_PKT0_PS4_PKS3_,comdat
	.globl	_ZN9rocsparseL25kernel_get_permuted_arrayILj512E21rocsparse_complex_numIfElEEvT1_PKT0_PS4_PKS3_ ; -- Begin function _ZN9rocsparseL25kernel_get_permuted_arrayILj512E21rocsparse_complex_numIfElEEvT1_PKT0_PS4_PKS3_
	.p2align	8
	.type	_ZN9rocsparseL25kernel_get_permuted_arrayILj512E21rocsparse_complex_numIfElEEvT1_PKT0_PS4_PKS3_,@function
_ZN9rocsparseL25kernel_get_permuted_arrayILj512E21rocsparse_complex_numIfElEEvT1_PKT0_PS4_PKS3_: ; @_ZN9rocsparseL25kernel_get_permuted_arrayILj512E21rocsparse_complex_numIfElEEvT1_PKT0_PS4_PKS3_
; %bb.0:
	s_load_dword s0, s[4:5], 0x2c
	s_load_dwordx8 s[8:15], s[4:5], 0x0
	v_mov_b32_e32 v1, 0
	s_waitcnt lgkmcnt(0)
	s_and_b32 s0, s0, 0xffff
	s_mul_i32 s6, s6, s0
	v_add_u32_e32 v0, s6, v0
	v_cmp_gt_i64_e32 vcc, s[8:9], v[0:1]
	s_and_saveexec_b64 s[0:1], vcc
	s_cbranch_execz .LBB73_2
; %bb.1:
	v_lshlrev_b64 v[0:1], 3, v[0:1]
	v_mov_b32_e32 v3, s15
	v_add_co_u32_e32 v2, vcc, s14, v0
	v_addc_co_u32_e32 v3, vcc, v3, v1, vcc
	global_load_dwordx2 v[2:3], v[2:3], off
	v_mov_b32_e32 v4, s11
	s_waitcnt vmcnt(0)
	v_lshlrev_b64 v[2:3], 3, v[2:3]
	v_add_co_u32_e32 v2, vcc, s10, v2
	v_addc_co_u32_e32 v3, vcc, v4, v3, vcc
	global_load_dwordx2 v[2:3], v[2:3], off
	v_mov_b32_e32 v4, s13
	v_add_co_u32_e32 v0, vcc, s12, v0
	v_addc_co_u32_e32 v1, vcc, v4, v1, vcc
	s_waitcnt vmcnt(0)
	global_store_dwordx2 v[0:1], v[2:3], off
.LBB73_2:
	s_endpgm
	.section	.rodata,"a",@progbits
	.p2align	6, 0x0
	.amdhsa_kernel _ZN9rocsparseL25kernel_get_permuted_arrayILj512E21rocsparse_complex_numIfElEEvT1_PKT0_PS4_PKS3_
		.amdhsa_group_segment_fixed_size 0
		.amdhsa_private_segment_fixed_size 0
		.amdhsa_kernarg_size 288
		.amdhsa_user_sgpr_count 6
		.amdhsa_user_sgpr_private_segment_buffer 1
		.amdhsa_user_sgpr_dispatch_ptr 0
		.amdhsa_user_sgpr_queue_ptr 0
		.amdhsa_user_sgpr_kernarg_segment_ptr 1
		.amdhsa_user_sgpr_dispatch_id 0
		.amdhsa_user_sgpr_flat_scratch_init 0
		.amdhsa_user_sgpr_kernarg_preload_length 0
		.amdhsa_user_sgpr_kernarg_preload_offset 0
		.amdhsa_user_sgpr_private_segment_size 0
		.amdhsa_uses_dynamic_stack 0
		.amdhsa_system_sgpr_private_segment_wavefront_offset 0
		.amdhsa_system_sgpr_workgroup_id_x 1
		.amdhsa_system_sgpr_workgroup_id_y 0
		.amdhsa_system_sgpr_workgroup_id_z 0
		.amdhsa_system_sgpr_workgroup_info 0
		.amdhsa_system_vgpr_workitem_id 0
		.amdhsa_next_free_vgpr 5
		.amdhsa_next_free_sgpr 16
		.amdhsa_accum_offset 8
		.amdhsa_reserve_vcc 1
		.amdhsa_reserve_flat_scratch 0
		.amdhsa_float_round_mode_32 0
		.amdhsa_float_round_mode_16_64 0
		.amdhsa_float_denorm_mode_32 3
		.amdhsa_float_denorm_mode_16_64 3
		.amdhsa_dx10_clamp 1
		.amdhsa_ieee_mode 1
		.amdhsa_fp16_overflow 0
		.amdhsa_tg_split 0
		.amdhsa_exception_fp_ieee_invalid_op 0
		.amdhsa_exception_fp_denorm_src 0
		.amdhsa_exception_fp_ieee_div_zero 0
		.amdhsa_exception_fp_ieee_overflow 0
		.amdhsa_exception_fp_ieee_underflow 0
		.amdhsa_exception_fp_ieee_inexact 0
		.amdhsa_exception_int_div_zero 0
	.end_amdhsa_kernel
	.section	.text._ZN9rocsparseL25kernel_get_permuted_arrayILj512E21rocsparse_complex_numIfElEEvT1_PKT0_PS4_PKS3_,"axG",@progbits,_ZN9rocsparseL25kernel_get_permuted_arrayILj512E21rocsparse_complex_numIfElEEvT1_PKT0_PS4_PKS3_,comdat
.Lfunc_end73:
	.size	_ZN9rocsparseL25kernel_get_permuted_arrayILj512E21rocsparse_complex_numIfElEEvT1_PKT0_PS4_PKS3_, .Lfunc_end73-_ZN9rocsparseL25kernel_get_permuted_arrayILj512E21rocsparse_complex_numIfElEEvT1_PKT0_PS4_PKS3_
                                        ; -- End function
	.section	.AMDGPU.csdata,"",@progbits
; Kernel info:
; codeLenInByte = 140
; NumSgprs: 20
; NumVgprs: 5
; NumAgprs: 0
; TotalNumVgprs: 5
; ScratchSize: 0
; MemoryBound: 0
; FloatMode: 240
; IeeeMode: 1
; LDSByteSize: 0 bytes/workgroup (compile time only)
; SGPRBlocks: 2
; VGPRBlocks: 0
; NumSGPRsForWavesPerEU: 20
; NumVGPRsForWavesPerEU: 5
; AccumOffset: 8
; Occupancy: 8
; WaveLimiterHint : 1
; COMPUTE_PGM_RSRC2:SCRATCH_EN: 0
; COMPUTE_PGM_RSRC2:USER_SGPR: 6
; COMPUTE_PGM_RSRC2:TRAP_HANDLER: 0
; COMPUTE_PGM_RSRC2:TGID_X_EN: 1
; COMPUTE_PGM_RSRC2:TGID_Y_EN: 0
; COMPUTE_PGM_RSRC2:TGID_Z_EN: 0
; COMPUTE_PGM_RSRC2:TIDIG_COMP_CNT: 0
; COMPUTE_PGM_RSRC3_GFX90A:ACCUM_OFFSET: 1
; COMPUTE_PGM_RSRC3_GFX90A:TG_SPLIT: 0
	.section	.text._ZN9rocsparseL25kernel_set_permuted_arrayILj512E21rocsparse_complex_numIfElEEvT1_PT0_PKS4_PKS3_,"axG",@progbits,_ZN9rocsparseL25kernel_set_permuted_arrayILj512E21rocsparse_complex_numIfElEEvT1_PT0_PKS4_PKS3_,comdat
	.globl	_ZN9rocsparseL25kernel_set_permuted_arrayILj512E21rocsparse_complex_numIfElEEvT1_PT0_PKS4_PKS3_ ; -- Begin function _ZN9rocsparseL25kernel_set_permuted_arrayILj512E21rocsparse_complex_numIfElEEvT1_PT0_PKS4_PKS3_
	.p2align	8
	.type	_ZN9rocsparseL25kernel_set_permuted_arrayILj512E21rocsparse_complex_numIfElEEvT1_PT0_PKS4_PKS3_,@function
_ZN9rocsparseL25kernel_set_permuted_arrayILj512E21rocsparse_complex_numIfElEEvT1_PT0_PKS4_PKS3_: ; @_ZN9rocsparseL25kernel_set_permuted_arrayILj512E21rocsparse_complex_numIfElEEvT1_PT0_PKS4_PKS3_
; %bb.0:
	s_load_dword s0, s[4:5], 0x2c
	s_load_dwordx8 s[8:15], s[4:5], 0x0
	v_mov_b32_e32 v1, 0
	s_waitcnt lgkmcnt(0)
	s_and_b32 s0, s0, 0xffff
	s_mul_i32 s6, s6, s0
	v_add_u32_e32 v0, s6, v0
	v_cmp_gt_i64_e32 vcc, s[8:9], v[0:1]
	s_and_saveexec_b64 s[0:1], vcc
	s_cbranch_execz .LBB74_2
; %bb.1:
	v_lshlrev_b64 v[0:1], 3, v[0:1]
	v_mov_b32_e32 v3, s15
	v_add_co_u32_e32 v2, vcc, s14, v0
	v_addc_co_u32_e32 v3, vcc, v3, v1, vcc
	global_load_dwordx2 v[2:3], v[2:3], off
	v_mov_b32_e32 v4, s13
	v_add_co_u32_e32 v0, vcc, s12, v0
	v_addc_co_u32_e32 v1, vcc, v4, v1, vcc
	global_load_dwordx2 v[0:1], v[0:1], off
	v_mov_b32_e32 v4, s11
	s_waitcnt vmcnt(1)
	v_lshlrev_b64 v[2:3], 3, v[2:3]
	v_add_co_u32_e32 v2, vcc, s10, v2
	v_addc_co_u32_e32 v3, vcc, v4, v3, vcc
	s_waitcnt vmcnt(0)
	global_store_dwordx2 v[2:3], v[0:1], off
.LBB74_2:
	s_endpgm
	.section	.rodata,"a",@progbits
	.p2align	6, 0x0
	.amdhsa_kernel _ZN9rocsparseL25kernel_set_permuted_arrayILj512E21rocsparse_complex_numIfElEEvT1_PT0_PKS4_PKS3_
		.amdhsa_group_segment_fixed_size 0
		.amdhsa_private_segment_fixed_size 0
		.amdhsa_kernarg_size 288
		.amdhsa_user_sgpr_count 6
		.amdhsa_user_sgpr_private_segment_buffer 1
		.amdhsa_user_sgpr_dispatch_ptr 0
		.amdhsa_user_sgpr_queue_ptr 0
		.amdhsa_user_sgpr_kernarg_segment_ptr 1
		.amdhsa_user_sgpr_dispatch_id 0
		.amdhsa_user_sgpr_flat_scratch_init 0
		.amdhsa_user_sgpr_kernarg_preload_length 0
		.amdhsa_user_sgpr_kernarg_preload_offset 0
		.amdhsa_user_sgpr_private_segment_size 0
		.amdhsa_uses_dynamic_stack 0
		.amdhsa_system_sgpr_private_segment_wavefront_offset 0
		.amdhsa_system_sgpr_workgroup_id_x 1
		.amdhsa_system_sgpr_workgroup_id_y 0
		.amdhsa_system_sgpr_workgroup_id_z 0
		.amdhsa_system_sgpr_workgroup_info 0
		.amdhsa_system_vgpr_workitem_id 0
		.amdhsa_next_free_vgpr 5
		.amdhsa_next_free_sgpr 16
		.amdhsa_accum_offset 8
		.amdhsa_reserve_vcc 1
		.amdhsa_reserve_flat_scratch 0
		.amdhsa_float_round_mode_32 0
		.amdhsa_float_round_mode_16_64 0
		.amdhsa_float_denorm_mode_32 3
		.amdhsa_float_denorm_mode_16_64 3
		.amdhsa_dx10_clamp 1
		.amdhsa_ieee_mode 1
		.amdhsa_fp16_overflow 0
		.amdhsa_tg_split 0
		.amdhsa_exception_fp_ieee_invalid_op 0
		.amdhsa_exception_fp_denorm_src 0
		.amdhsa_exception_fp_ieee_div_zero 0
		.amdhsa_exception_fp_ieee_overflow 0
		.amdhsa_exception_fp_ieee_underflow 0
		.amdhsa_exception_fp_ieee_inexact 0
		.amdhsa_exception_int_div_zero 0
	.end_amdhsa_kernel
	.section	.text._ZN9rocsparseL25kernel_set_permuted_arrayILj512E21rocsparse_complex_numIfElEEvT1_PT0_PKS4_PKS3_,"axG",@progbits,_ZN9rocsparseL25kernel_set_permuted_arrayILj512E21rocsparse_complex_numIfElEEvT1_PT0_PKS4_PKS3_,comdat
.Lfunc_end74:
	.size	_ZN9rocsparseL25kernel_set_permuted_arrayILj512E21rocsparse_complex_numIfElEEvT1_PT0_PKS4_PKS3_, .Lfunc_end74-_ZN9rocsparseL25kernel_set_permuted_arrayILj512E21rocsparse_complex_numIfElEEvT1_PT0_PKS4_PKS3_
                                        ; -- End function
	.section	.AMDGPU.csdata,"",@progbits
; Kernel info:
; codeLenInByte = 140
; NumSgprs: 20
; NumVgprs: 5
; NumAgprs: 0
; TotalNumVgprs: 5
; ScratchSize: 0
; MemoryBound: 0
; FloatMode: 240
; IeeeMode: 1
; LDSByteSize: 0 bytes/workgroup (compile time only)
; SGPRBlocks: 2
; VGPRBlocks: 0
; NumSGPRsForWavesPerEU: 20
; NumVGPRsForWavesPerEU: 5
; AccumOffset: 8
; Occupancy: 8
; WaveLimiterHint : 1
; COMPUTE_PGM_RSRC2:SCRATCH_EN: 0
; COMPUTE_PGM_RSRC2:USER_SGPR: 6
; COMPUTE_PGM_RSRC2:TRAP_HANDLER: 0
; COMPUTE_PGM_RSRC2:TGID_X_EN: 1
; COMPUTE_PGM_RSRC2:TGID_Y_EN: 0
; COMPUTE_PGM_RSRC2:TGID_Z_EN: 0
; COMPUTE_PGM_RSRC2:TIDIG_COMP_CNT: 0
; COMPUTE_PGM_RSRC3_GFX90A:ACCUM_OFFSET: 1
; COMPUTE_PGM_RSRC3_GFX90A:TG_SPLIT: 0
	.section	.text._ZN9rocsparseL25kernel_set_identity_arrayILj512E21rocsparse_complex_numIdElEEvT1_PT0_,"axG",@progbits,_ZN9rocsparseL25kernel_set_identity_arrayILj512E21rocsparse_complex_numIdElEEvT1_PT0_,comdat
	.globl	_ZN9rocsparseL25kernel_set_identity_arrayILj512E21rocsparse_complex_numIdElEEvT1_PT0_ ; -- Begin function _ZN9rocsparseL25kernel_set_identity_arrayILj512E21rocsparse_complex_numIdElEEvT1_PT0_
	.p2align	8
	.type	_ZN9rocsparseL25kernel_set_identity_arrayILj512E21rocsparse_complex_numIdElEEvT1_PT0_,@function
_ZN9rocsparseL25kernel_set_identity_arrayILj512E21rocsparse_complex_numIdElEEvT1_PT0_: ; @_ZN9rocsparseL25kernel_set_identity_arrayILj512E21rocsparse_complex_numIdElEEvT1_PT0_
; %bb.0:
	s_load_dword s7, s[4:5], 0x1c
	s_load_dwordx4 s[0:3], s[4:5], 0x0
	v_mov_b32_e32 v3, 0
	s_waitcnt lgkmcnt(0)
	s_and_b32 s4, s7, 0xffff
	s_mul_i32 s6, s6, s4
	v_add_u32_e32 v2, s6, v0
	v_cmp_gt_i64_e32 vcc, s[0:1], v[2:3]
	s_and_saveexec_b64 s[0:1], vcc
	s_cbranch_execz .LBB75_2
; %bb.1:
	v_lshlrev_b64 v[0:1], 4, v[2:3]
	v_mov_b32_e32 v2, s3
	v_add_co_u32_e32 v4, vcc, s2, v0
	v_addc_co_u32_e32 v5, vcc, v2, v1, vcc
	v_mov_b32_e32 v1, 0x3ff00000
	v_mov_b32_e32 v0, v3
	v_mov_b32_e32 v2, v3
	global_store_dwordx4 v[4:5], v[0:3], off
.LBB75_2:
	s_endpgm
	.section	.rodata,"a",@progbits
	.p2align	6, 0x0
	.amdhsa_kernel _ZN9rocsparseL25kernel_set_identity_arrayILj512E21rocsparse_complex_numIdElEEvT1_PT0_
		.amdhsa_group_segment_fixed_size 0
		.amdhsa_private_segment_fixed_size 0
		.amdhsa_kernarg_size 272
		.amdhsa_user_sgpr_count 6
		.amdhsa_user_sgpr_private_segment_buffer 1
		.amdhsa_user_sgpr_dispatch_ptr 0
		.amdhsa_user_sgpr_queue_ptr 0
		.amdhsa_user_sgpr_kernarg_segment_ptr 1
		.amdhsa_user_sgpr_dispatch_id 0
		.amdhsa_user_sgpr_flat_scratch_init 0
		.amdhsa_user_sgpr_kernarg_preload_length 0
		.amdhsa_user_sgpr_kernarg_preload_offset 0
		.amdhsa_user_sgpr_private_segment_size 0
		.amdhsa_uses_dynamic_stack 0
		.amdhsa_system_sgpr_private_segment_wavefront_offset 0
		.amdhsa_system_sgpr_workgroup_id_x 1
		.amdhsa_system_sgpr_workgroup_id_y 0
		.amdhsa_system_sgpr_workgroup_id_z 0
		.amdhsa_system_sgpr_workgroup_info 0
		.amdhsa_system_vgpr_workitem_id 0
		.amdhsa_next_free_vgpr 6
		.amdhsa_next_free_sgpr 8
		.amdhsa_accum_offset 8
		.amdhsa_reserve_vcc 1
		.amdhsa_reserve_flat_scratch 0
		.amdhsa_float_round_mode_32 0
		.amdhsa_float_round_mode_16_64 0
		.amdhsa_float_denorm_mode_32 3
		.amdhsa_float_denorm_mode_16_64 3
		.amdhsa_dx10_clamp 1
		.amdhsa_ieee_mode 1
		.amdhsa_fp16_overflow 0
		.amdhsa_tg_split 0
		.amdhsa_exception_fp_ieee_invalid_op 0
		.amdhsa_exception_fp_denorm_src 0
		.amdhsa_exception_fp_ieee_div_zero 0
		.amdhsa_exception_fp_ieee_overflow 0
		.amdhsa_exception_fp_ieee_underflow 0
		.amdhsa_exception_fp_ieee_inexact 0
		.amdhsa_exception_int_div_zero 0
	.end_amdhsa_kernel
	.section	.text._ZN9rocsparseL25kernel_set_identity_arrayILj512E21rocsparse_complex_numIdElEEvT1_PT0_,"axG",@progbits,_ZN9rocsparseL25kernel_set_identity_arrayILj512E21rocsparse_complex_numIdElEEvT1_PT0_,comdat
.Lfunc_end75:
	.size	_ZN9rocsparseL25kernel_set_identity_arrayILj512E21rocsparse_complex_numIdElEEvT1_PT0_, .Lfunc_end75-_ZN9rocsparseL25kernel_set_identity_arrayILj512E21rocsparse_complex_numIdElEEvT1_PT0_
                                        ; -- End function
	.section	.AMDGPU.csdata,"",@progbits
; Kernel info:
; codeLenInByte = 100
; NumSgprs: 12
; NumVgprs: 6
; NumAgprs: 0
; TotalNumVgprs: 6
; ScratchSize: 0
; MemoryBound: 0
; FloatMode: 240
; IeeeMode: 1
; LDSByteSize: 0 bytes/workgroup (compile time only)
; SGPRBlocks: 1
; VGPRBlocks: 0
; NumSGPRsForWavesPerEU: 12
; NumVGPRsForWavesPerEU: 6
; AccumOffset: 8
; Occupancy: 8
; WaveLimiterHint : 0
; COMPUTE_PGM_RSRC2:SCRATCH_EN: 0
; COMPUTE_PGM_RSRC2:USER_SGPR: 6
; COMPUTE_PGM_RSRC2:TRAP_HANDLER: 0
; COMPUTE_PGM_RSRC2:TGID_X_EN: 1
; COMPUTE_PGM_RSRC2:TGID_Y_EN: 0
; COMPUTE_PGM_RSRC2:TGID_Z_EN: 0
; COMPUTE_PGM_RSRC2:TIDIG_COMP_CNT: 0
; COMPUTE_PGM_RSRC3_GFX90A:ACCUM_OFFSET: 1
; COMPUTE_PGM_RSRC3_GFX90A:TG_SPLIT: 0
	.section	.text._ZN9rocsparseL25kernel_get_permuted_arrayILj512E21rocsparse_complex_numIdElEEvT1_PKT0_PS4_PKS3_,"axG",@progbits,_ZN9rocsparseL25kernel_get_permuted_arrayILj512E21rocsparse_complex_numIdElEEvT1_PKT0_PS4_PKS3_,comdat
	.globl	_ZN9rocsparseL25kernel_get_permuted_arrayILj512E21rocsparse_complex_numIdElEEvT1_PKT0_PS4_PKS3_ ; -- Begin function _ZN9rocsparseL25kernel_get_permuted_arrayILj512E21rocsparse_complex_numIdElEEvT1_PKT0_PS4_PKS3_
	.p2align	8
	.type	_ZN9rocsparseL25kernel_get_permuted_arrayILj512E21rocsparse_complex_numIdElEEvT1_PKT0_PS4_PKS3_,@function
_ZN9rocsparseL25kernel_get_permuted_arrayILj512E21rocsparse_complex_numIdElEEvT1_PKT0_PS4_PKS3_: ; @_ZN9rocsparseL25kernel_get_permuted_arrayILj512E21rocsparse_complex_numIdElEEvT1_PKT0_PS4_PKS3_
; %bb.0:
	s_load_dword s0, s[4:5], 0x2c
	s_load_dwordx8 s[8:15], s[4:5], 0x0
	v_mov_b32_e32 v1, 0
	s_waitcnt lgkmcnt(0)
	s_and_b32 s0, s0, 0xffff
	s_mul_i32 s6, s6, s0
	v_add_u32_e32 v0, s6, v0
	v_cmp_gt_i64_e32 vcc, s[8:9], v[0:1]
	s_and_saveexec_b64 s[0:1], vcc
	s_cbranch_execz .LBB76_2
; %bb.1:
	v_lshlrev_b64 v[2:3], 3, v[0:1]
	v_mov_b32_e32 v4, s15
	v_add_co_u32_e32 v2, vcc, s14, v2
	v_addc_co_u32_e32 v3, vcc, v4, v3, vcc
	global_load_dwordx2 v[2:3], v[2:3], off
	v_mov_b32_e32 v4, s11
	v_lshlrev_b64 v[0:1], 4, v[0:1]
	v_mov_b32_e32 v6, s13
	s_waitcnt vmcnt(0)
	v_lshlrev_b64 v[2:3], 4, v[2:3]
	v_add_co_u32_e32 v2, vcc, s10, v2
	v_addc_co_u32_e32 v3, vcc, v4, v3, vcc
	global_load_dwordx4 v[2:5], v[2:3], off
	v_add_co_u32_e32 v0, vcc, s12, v0
	v_addc_co_u32_e32 v1, vcc, v6, v1, vcc
	s_waitcnt vmcnt(0)
	global_store_dwordx4 v[0:1], v[2:5], off
.LBB76_2:
	s_endpgm
	.section	.rodata,"a",@progbits
	.p2align	6, 0x0
	.amdhsa_kernel _ZN9rocsparseL25kernel_get_permuted_arrayILj512E21rocsparse_complex_numIdElEEvT1_PKT0_PS4_PKS3_
		.amdhsa_group_segment_fixed_size 0
		.amdhsa_private_segment_fixed_size 0
		.amdhsa_kernarg_size 288
		.amdhsa_user_sgpr_count 6
		.amdhsa_user_sgpr_private_segment_buffer 1
		.amdhsa_user_sgpr_dispatch_ptr 0
		.amdhsa_user_sgpr_queue_ptr 0
		.amdhsa_user_sgpr_kernarg_segment_ptr 1
		.amdhsa_user_sgpr_dispatch_id 0
		.amdhsa_user_sgpr_flat_scratch_init 0
		.amdhsa_user_sgpr_kernarg_preload_length 0
		.amdhsa_user_sgpr_kernarg_preload_offset 0
		.amdhsa_user_sgpr_private_segment_size 0
		.amdhsa_uses_dynamic_stack 0
		.amdhsa_system_sgpr_private_segment_wavefront_offset 0
		.amdhsa_system_sgpr_workgroup_id_x 1
		.amdhsa_system_sgpr_workgroup_id_y 0
		.amdhsa_system_sgpr_workgroup_id_z 0
		.amdhsa_system_sgpr_workgroup_info 0
		.amdhsa_system_vgpr_workitem_id 0
		.amdhsa_next_free_vgpr 7
		.amdhsa_next_free_sgpr 16
		.amdhsa_accum_offset 8
		.amdhsa_reserve_vcc 1
		.amdhsa_reserve_flat_scratch 0
		.amdhsa_float_round_mode_32 0
		.amdhsa_float_round_mode_16_64 0
		.amdhsa_float_denorm_mode_32 3
		.amdhsa_float_denorm_mode_16_64 3
		.amdhsa_dx10_clamp 1
		.amdhsa_ieee_mode 1
		.amdhsa_fp16_overflow 0
		.amdhsa_tg_split 0
		.amdhsa_exception_fp_ieee_invalid_op 0
		.amdhsa_exception_fp_denorm_src 0
		.amdhsa_exception_fp_ieee_div_zero 0
		.amdhsa_exception_fp_ieee_overflow 0
		.amdhsa_exception_fp_ieee_underflow 0
		.amdhsa_exception_fp_ieee_inexact 0
		.amdhsa_exception_int_div_zero 0
	.end_amdhsa_kernel
	.section	.text._ZN9rocsparseL25kernel_get_permuted_arrayILj512E21rocsparse_complex_numIdElEEvT1_PKT0_PS4_PKS3_,"axG",@progbits,_ZN9rocsparseL25kernel_get_permuted_arrayILj512E21rocsparse_complex_numIdElEEvT1_PKT0_PS4_PKS3_,comdat
.Lfunc_end76:
	.size	_ZN9rocsparseL25kernel_get_permuted_arrayILj512E21rocsparse_complex_numIdElEEvT1_PKT0_PS4_PKS3_, .Lfunc_end76-_ZN9rocsparseL25kernel_get_permuted_arrayILj512E21rocsparse_complex_numIdElEEvT1_PKT0_PS4_PKS3_
                                        ; -- End function
	.section	.AMDGPU.csdata,"",@progbits
; Kernel info:
; codeLenInByte = 148
; NumSgprs: 20
; NumVgprs: 7
; NumAgprs: 0
; TotalNumVgprs: 7
; ScratchSize: 0
; MemoryBound: 0
; FloatMode: 240
; IeeeMode: 1
; LDSByteSize: 0 bytes/workgroup (compile time only)
; SGPRBlocks: 2
; VGPRBlocks: 0
; NumSGPRsForWavesPerEU: 20
; NumVGPRsForWavesPerEU: 7
; AccumOffset: 8
; Occupancy: 8
; WaveLimiterHint : 0
; COMPUTE_PGM_RSRC2:SCRATCH_EN: 0
; COMPUTE_PGM_RSRC2:USER_SGPR: 6
; COMPUTE_PGM_RSRC2:TRAP_HANDLER: 0
; COMPUTE_PGM_RSRC2:TGID_X_EN: 1
; COMPUTE_PGM_RSRC2:TGID_Y_EN: 0
; COMPUTE_PGM_RSRC2:TGID_Z_EN: 0
; COMPUTE_PGM_RSRC2:TIDIG_COMP_CNT: 0
; COMPUTE_PGM_RSRC3_GFX90A:ACCUM_OFFSET: 1
; COMPUTE_PGM_RSRC3_GFX90A:TG_SPLIT: 0
	.section	.text._ZN9rocsparseL25kernel_set_permuted_arrayILj512E21rocsparse_complex_numIdElEEvT1_PT0_PKS4_PKS3_,"axG",@progbits,_ZN9rocsparseL25kernel_set_permuted_arrayILj512E21rocsparse_complex_numIdElEEvT1_PT0_PKS4_PKS3_,comdat
	.globl	_ZN9rocsparseL25kernel_set_permuted_arrayILj512E21rocsparse_complex_numIdElEEvT1_PT0_PKS4_PKS3_ ; -- Begin function _ZN9rocsparseL25kernel_set_permuted_arrayILj512E21rocsparse_complex_numIdElEEvT1_PT0_PKS4_PKS3_
	.p2align	8
	.type	_ZN9rocsparseL25kernel_set_permuted_arrayILj512E21rocsparse_complex_numIdElEEvT1_PT0_PKS4_PKS3_,@function
_ZN9rocsparseL25kernel_set_permuted_arrayILj512E21rocsparse_complex_numIdElEEvT1_PT0_PKS4_PKS3_: ; @_ZN9rocsparseL25kernel_set_permuted_arrayILj512E21rocsparse_complex_numIdElEEvT1_PT0_PKS4_PKS3_
; %bb.0:
	s_load_dword s0, s[4:5], 0x2c
	s_load_dwordx8 s[8:15], s[4:5], 0x0
	v_mov_b32_e32 v1, 0
	s_waitcnt lgkmcnt(0)
	s_and_b32 s0, s0, 0xffff
	s_mul_i32 s6, s6, s0
	v_add_u32_e32 v0, s6, v0
	v_cmp_gt_i64_e32 vcc, s[8:9], v[0:1]
	s_and_saveexec_b64 s[0:1], vcc
	s_cbranch_execz .LBB77_2
; %bb.1:
	v_lshlrev_b64 v[2:3], 3, v[0:1]
	v_mov_b32_e32 v4, s15
	v_add_co_u32_e32 v2, vcc, s14, v2
	v_addc_co_u32_e32 v3, vcc, v4, v3, vcc
	v_lshlrev_b64 v[0:1], 4, v[0:1]
	global_load_dwordx2 v[4:5], v[2:3], off
	v_mov_b32_e32 v6, s13
	v_add_co_u32_e32 v0, vcc, s12, v0
	v_addc_co_u32_e32 v1, vcc, v6, v1, vcc
	global_load_dwordx4 v[0:3], v[0:1], off
	v_mov_b32_e32 v6, s11
	s_waitcnt vmcnt(1)
	v_lshlrev_b64 v[4:5], 4, v[4:5]
	v_add_co_u32_e32 v4, vcc, s10, v4
	v_addc_co_u32_e32 v5, vcc, v6, v5, vcc
	s_waitcnt vmcnt(0)
	global_store_dwordx4 v[4:5], v[0:3], off
.LBB77_2:
	s_endpgm
	.section	.rodata,"a",@progbits
	.p2align	6, 0x0
	.amdhsa_kernel _ZN9rocsparseL25kernel_set_permuted_arrayILj512E21rocsparse_complex_numIdElEEvT1_PT0_PKS4_PKS3_
		.amdhsa_group_segment_fixed_size 0
		.amdhsa_private_segment_fixed_size 0
		.amdhsa_kernarg_size 288
		.amdhsa_user_sgpr_count 6
		.amdhsa_user_sgpr_private_segment_buffer 1
		.amdhsa_user_sgpr_dispatch_ptr 0
		.amdhsa_user_sgpr_queue_ptr 0
		.amdhsa_user_sgpr_kernarg_segment_ptr 1
		.amdhsa_user_sgpr_dispatch_id 0
		.amdhsa_user_sgpr_flat_scratch_init 0
		.amdhsa_user_sgpr_kernarg_preload_length 0
		.amdhsa_user_sgpr_kernarg_preload_offset 0
		.amdhsa_user_sgpr_private_segment_size 0
		.amdhsa_uses_dynamic_stack 0
		.amdhsa_system_sgpr_private_segment_wavefront_offset 0
		.amdhsa_system_sgpr_workgroup_id_x 1
		.amdhsa_system_sgpr_workgroup_id_y 0
		.amdhsa_system_sgpr_workgroup_id_z 0
		.amdhsa_system_sgpr_workgroup_info 0
		.amdhsa_system_vgpr_workitem_id 0
		.amdhsa_next_free_vgpr 7
		.amdhsa_next_free_sgpr 16
		.amdhsa_accum_offset 8
		.amdhsa_reserve_vcc 1
		.amdhsa_reserve_flat_scratch 0
		.amdhsa_float_round_mode_32 0
		.amdhsa_float_round_mode_16_64 0
		.amdhsa_float_denorm_mode_32 3
		.amdhsa_float_denorm_mode_16_64 3
		.amdhsa_dx10_clamp 1
		.amdhsa_ieee_mode 1
		.amdhsa_fp16_overflow 0
		.amdhsa_tg_split 0
		.amdhsa_exception_fp_ieee_invalid_op 0
		.amdhsa_exception_fp_denorm_src 0
		.amdhsa_exception_fp_ieee_div_zero 0
		.amdhsa_exception_fp_ieee_overflow 0
		.amdhsa_exception_fp_ieee_underflow 0
		.amdhsa_exception_fp_ieee_inexact 0
		.amdhsa_exception_int_div_zero 0
	.end_amdhsa_kernel
	.section	.text._ZN9rocsparseL25kernel_set_permuted_arrayILj512E21rocsparse_complex_numIdElEEvT1_PT0_PKS4_PKS3_,"axG",@progbits,_ZN9rocsparseL25kernel_set_permuted_arrayILj512E21rocsparse_complex_numIdElEEvT1_PT0_PKS4_PKS3_,comdat
.Lfunc_end77:
	.size	_ZN9rocsparseL25kernel_set_permuted_arrayILj512E21rocsparse_complex_numIdElEEvT1_PT0_PKS4_PKS3_, .Lfunc_end77-_ZN9rocsparseL25kernel_set_permuted_arrayILj512E21rocsparse_complex_numIdElEEvT1_PT0_PKS4_PKS3_
                                        ; -- End function
	.section	.AMDGPU.csdata,"",@progbits
; Kernel info:
; codeLenInByte = 148
; NumSgprs: 20
; NumVgprs: 7
; NumAgprs: 0
; TotalNumVgprs: 7
; ScratchSize: 0
; MemoryBound: 0
; FloatMode: 240
; IeeeMode: 1
; LDSByteSize: 0 bytes/workgroup (compile time only)
; SGPRBlocks: 2
; VGPRBlocks: 0
; NumSGPRsForWavesPerEU: 20
; NumVGPRsForWavesPerEU: 7
; AccumOffset: 8
; Occupancy: 8
; WaveLimiterHint : 1
; COMPUTE_PGM_RSRC2:SCRATCH_EN: 0
; COMPUTE_PGM_RSRC2:USER_SGPR: 6
; COMPUTE_PGM_RSRC2:TRAP_HANDLER: 0
; COMPUTE_PGM_RSRC2:TGID_X_EN: 1
; COMPUTE_PGM_RSRC2:TGID_Y_EN: 0
; COMPUTE_PGM_RSRC2:TGID_Z_EN: 0
; COMPUTE_PGM_RSRC2:TIDIG_COMP_CNT: 0
; COMPUTE_PGM_RSRC3_GFX90A:ACCUM_OFFSET: 1
; COMPUTE_PGM_RSRC3_GFX90A:TG_SPLIT: 0
	.section	.text._ZN9rocsparseL18kernel_nrminf_diffILj1024EfEEvmPKT0_S3_PNS_15floating_traitsIS1_E6data_tEPKS6_,"axG",@progbits,_ZN9rocsparseL18kernel_nrminf_diffILj1024EfEEvmPKT0_S3_PNS_15floating_traitsIS1_E6data_tEPKS6_,comdat
	.globl	_ZN9rocsparseL18kernel_nrminf_diffILj1024EfEEvmPKT0_S3_PNS_15floating_traitsIS1_E6data_tEPKS6_ ; -- Begin function _ZN9rocsparseL18kernel_nrminf_diffILj1024EfEEvmPKT0_S3_PNS_15floating_traitsIS1_E6data_tEPKS6_
	.p2align	8
	.type	_ZN9rocsparseL18kernel_nrminf_diffILj1024EfEEvmPKT0_S3_PNS_15floating_traitsIS1_E6data_tEPKS6_,@function
_ZN9rocsparseL18kernel_nrminf_diffILj1024EfEEvmPKT0_S3_PNS_15floating_traitsIS1_E6data_tEPKS6_: ; @_ZN9rocsparseL18kernel_nrminf_diffILj1024EfEEvmPKT0_S3_PNS_15floating_traitsIS1_E6data_tEPKS6_
; %bb.0:
	s_load_dwordx2 s[0:1], s[4:5], 0x0
	v_lshl_or_b32 v2, s6, 10, v0
	v_mov_b32_e32 v3, 0
	s_waitcnt lgkmcnt(0)
	v_cmp_gt_u64_e32 vcc, s[0:1], v[2:3]
	s_and_saveexec_b64 s[0:1], vcc
	s_cbranch_execz .LBB78_2
; %bb.1:
	s_load_dwordx4 s[8:11], s[4:5], 0x8
	v_lshlrev_b64 v[2:3], 2, v[2:3]
	s_waitcnt lgkmcnt(0)
	v_mov_b32_e32 v1, s11
	v_add_co_u32_e32 v4, vcc, s10, v2
	v_addc_co_u32_e32 v5, vcc, v1, v3, vcc
	v_mov_b32_e32 v1, s9
	v_add_co_u32_e32 v2, vcc, s8, v2
	v_addc_co_u32_e32 v3, vcc, v1, v3, vcc
	global_load_dword v1, v[2:3], off
	global_load_dword v6, v[4:5], off
	s_waitcnt vmcnt(0)
	v_sub_f32_e32 v1, v1, v6
	v_and_b32_e32 v3, 0x7fffffff, v1
.LBB78_2:
	s_or_b64 exec, exec, s[0:1]
	s_movk_i32 s0, 0x200
	v_lshlrev_b32_e32 v1, 2, v0
	v_cmp_gt_u32_e32 vcc, s0, v0
	ds_write_b32 v1, v3
	s_waitcnt lgkmcnt(0)
	s_barrier
	s_and_saveexec_b64 s[0:1], vcc
	s_cbranch_execz .LBB78_4
; %bb.3:
	ds_read2st64_b32 v[2:3], v1 offset1:8
	s_waitcnt lgkmcnt(0)
	v_cmp_lt_f32_e32 vcc, v2, v3
	v_cndmask_b32_e32 v2, v2, v3, vcc
	ds_write_b32 v1, v2
.LBB78_4:
	s_or_b64 exec, exec, s[0:1]
	s_movk_i32 s0, 0x100
	v_cmp_gt_u32_e32 vcc, s0, v0
	s_waitcnt lgkmcnt(0)
	s_barrier
	s_and_saveexec_b64 s[0:1], vcc
	s_cbranch_execz .LBB78_6
; %bb.5:
	ds_read2st64_b32 v[2:3], v1 offset1:4
	s_waitcnt lgkmcnt(0)
	v_cmp_lt_f32_e32 vcc, v2, v3
	v_cndmask_b32_e32 v2, v2, v3, vcc
	ds_write_b32 v1, v2
.LBB78_6:
	s_or_b64 exec, exec, s[0:1]
	s_movk_i32 s0, 0x80
	v_cmp_gt_u32_e32 vcc, s0, v0
	s_waitcnt lgkmcnt(0)
	s_barrier
	s_and_saveexec_b64 s[0:1], vcc
	s_cbranch_execz .LBB78_8
; %bb.7:
	ds_read2st64_b32 v[2:3], v1 offset1:2
	s_waitcnt lgkmcnt(0)
	v_cmp_lt_f32_e32 vcc, v2, v3
	v_cndmask_b32_e32 v2, v2, v3, vcc
	ds_write_b32 v1, v2
.LBB78_8:
	s_or_b64 exec, exec, s[0:1]
	v_cmp_gt_u32_e32 vcc, 64, v0
	s_waitcnt lgkmcnt(0)
	s_barrier
	s_and_saveexec_b64 s[0:1], vcc
	s_cbranch_execz .LBB78_10
; %bb.9:
	ds_read2st64_b32 v[2:3], v1 offset1:1
	s_waitcnt lgkmcnt(0)
	v_cmp_lt_f32_e32 vcc, v2, v3
	v_cndmask_b32_e32 v2, v2, v3, vcc
	ds_write_b32 v1, v2
.LBB78_10:
	s_or_b64 exec, exec, s[0:1]
	v_cmp_gt_u32_e32 vcc, 32, v0
	s_waitcnt lgkmcnt(0)
	s_barrier
	s_and_saveexec_b64 s[0:1], vcc
	s_cbranch_execz .LBB78_12
; %bb.11:
	ds_read2_b32 v[2:3], v1 offset1:32
	s_waitcnt lgkmcnt(0)
	v_cmp_lt_f32_e32 vcc, v2, v3
	v_cndmask_b32_e32 v2, v2, v3, vcc
	ds_write_b32 v1, v2
.LBB78_12:
	s_or_b64 exec, exec, s[0:1]
	v_cmp_gt_u32_e32 vcc, 16, v0
	s_waitcnt lgkmcnt(0)
	s_barrier
	s_and_saveexec_b64 s[0:1], vcc
	s_cbranch_execz .LBB78_14
; %bb.13:
	ds_read2_b32 v[2:3], v1 offset1:16
	s_waitcnt lgkmcnt(0)
	v_cmp_lt_f32_e32 vcc, v2, v3
	v_cndmask_b32_e32 v2, v2, v3, vcc
	ds_write_b32 v1, v2
.LBB78_14:
	;; [unrolled: 13-line block ×5, first 2 shown]
	s_or_b64 exec, exec, s[0:1]
	v_cmp_eq_u32_e32 vcc, 0, v0
	s_waitcnt lgkmcnt(0)
	s_barrier
	s_and_saveexec_b64 s[2:3], vcc
	s_cbranch_execz .LBB78_22
; %bb.21:
	v_mov_b32_e32 v2, 0
	ds_read_b64 v[0:1], v2
	s_waitcnt lgkmcnt(0)
	v_cmp_lt_f32_e64 s[0:1], v0, v1
	v_cndmask_b32_e64 v0, v0, v1, s[0:1]
	ds_write_b32 v2, v0
.LBB78_22:
	s_or_b64 exec, exec, s[2:3]
	s_waitcnt lgkmcnt(0)
	s_barrier
	s_and_saveexec_b64 s[0:1], vcc
	s_cbranch_execz .LBB78_34
; %bb.23:
	s_load_dwordx4 s[4:7], s[4:5], 0x18
	v_mov_b32_e32 v1, 0
	ds_read_b32 v0, v1
	s_mov_b64 s[2:3], 0
	s_waitcnt lgkmcnt(0)
	s_cmp_eq_u64 s[6:7], 0
	s_cbranch_scc1 .LBB78_29
; %bb.24:
	s_load_dword s6, s[6:7], 0x0
	global_load_dword v3, v1, s[4:5] glc
                                        ; implicit-def: $sgpr10_sgpr11
	s_waitcnt lgkmcnt(0)
	v_div_scale_f32 v2, s[0:1], s6, s6, v0
	v_rcp_f32_e32 v4, v2
	v_div_scale_f32 v5, vcc, v0, s6, v0
	s_brev_b32 s0, 1
	v_fma_f32 v6, -v2, v4, 1.0
	v_fmac_f32_e32 v4, v6, v4
	v_mul_f32_e32 v6, v5, v4
	v_fma_f32 v7, -v2, v6, v5
	v_fmac_f32_e32 v6, v7, v4
	v_fma_f32 v2, -v2, v6, v5
	v_div_fmas_f32 v2, v2, v4, v6
	v_div_fixup_f32 v2, v2, s6, v0
	v_cmp_eq_f32_e32 vcc, 0, v2
                                        ; implicit-def: $sgpr6_sgpr7
	s_waitcnt vmcnt(0)
	v_cmp_eq_u32_e64 s[8:9], s0, v3
	s_branch .LBB78_26
.LBB78_25:                              ;   in Loop: Header=BB78_26 Depth=1
	s_or_b64 exec, exec, s[12:13]
	s_and_b64 s[0:1], exec, s[6:7]
	s_or_b64 s[2:3], s[0:1], s[2:3]
	s_andn2_b64 s[0:1], s[8:9], exec
	s_and_b64 s[8:9], s[10:11], exec
	s_or_b64 s[8:9], s[0:1], s[8:9]
	s_andn2_b64 exec, exec, s[2:3]
	s_cbranch_execz .LBB78_28
.LBB78_26:                              ; =>This Inner Loop Header: Depth=1
	v_cmp_lt_f32_e64 s[0:1], v3, v2
	s_and_b64 s[12:13], vcc, s[8:9]
	s_or_b64 s[0:1], s[0:1], s[12:13]
	s_andn2_b64 s[10:11], s[10:11], exec
	s_or_b64 s[6:7], s[6:7], exec
	s_and_saveexec_b64 s[12:13], s[0:1]
	s_cbranch_execz .LBB78_25
; %bb.27:                               ;   in Loop: Header=BB78_26 Depth=1
	global_atomic_cmpswap v4, v1, v[2:3], s[4:5] glc
	s_andn2_b64 s[10:11], s[10:11], exec
	s_andn2_b64 s[6:7], s[6:7], exec
                                        ; implicit-def: $sgpr8_sgpr9
	s_waitcnt vmcnt(0)
	v_cmp_eq_u32_e64 s[0:1], v4, v3
	v_cndmask_b32_e64 v3, v4, v3, s[0:1]
	v_cmp_class_f32_e64 s[14:15], v3, 32
	s_and_b64 s[0:1], s[0:1], exec
	s_and_b64 s[14:15], s[14:15], exec
	s_or_b64 s[6:7], s[6:7], s[0:1]
	s_or_b64 s[10:11], s[10:11], s[14:15]
	v_mov_b32_e32 v3, v4
	s_branch .LBB78_25
.LBB78_28:
	s_or_b64 exec, exec, s[2:3]
	s_branch .LBB78_34
.LBB78_29:
	s_cbranch_execz .LBB78_34
; %bb.30:
	v_mov_b32_e32 v2, 0
	global_load_dword v1, v2, s[4:5] glc
	s_brev_b32 s0, 1
	v_cmp_eq_f32_e32 vcc, 0, v0
	s_mov_b64 s[2:3], 0
                                        ; implicit-def: $sgpr6_sgpr7
                                        ; implicit-def: $sgpr10_sgpr11
	s_waitcnt vmcnt(0)
	v_cmp_eq_u32_e64 s[8:9], s0, v1
	s_branch .LBB78_32
.LBB78_31:                              ;   in Loop: Header=BB78_32 Depth=1
	s_or_b64 exec, exec, s[12:13]
	s_and_b64 s[0:1], exec, s[6:7]
	s_or_b64 s[2:3], s[0:1], s[2:3]
	s_andn2_b64 s[0:1], s[8:9], exec
	s_and_b64 s[8:9], s[10:11], exec
	s_or_b64 s[8:9], s[0:1], s[8:9]
	s_andn2_b64 exec, exec, s[2:3]
	s_cbranch_execz .LBB78_34
.LBB78_32:                              ; =>This Inner Loop Header: Depth=1
	v_cmp_lt_f32_e64 s[0:1], v1, v0
	s_and_b64 s[12:13], vcc, s[8:9]
	s_or_b64 s[0:1], s[0:1], s[12:13]
	s_andn2_b64 s[10:11], s[10:11], exec
	s_or_b64 s[6:7], s[6:7], exec
	s_and_saveexec_b64 s[12:13], s[0:1]
	s_cbranch_execz .LBB78_31
; %bb.33:                               ;   in Loop: Header=BB78_32 Depth=1
	global_atomic_cmpswap v3, v2, v[0:1], s[4:5] glc
	s_andn2_b64 s[10:11], s[10:11], exec
	s_andn2_b64 s[6:7], s[6:7], exec
                                        ; implicit-def: $sgpr8_sgpr9
	s_waitcnt vmcnt(0)
	v_cmp_eq_u32_e64 s[0:1], v3, v1
	v_cndmask_b32_e64 v1, v3, v1, s[0:1]
	v_cmp_class_f32_e64 s[14:15], v1, 32
	s_and_b64 s[0:1], s[0:1], exec
	s_and_b64 s[14:15], s[14:15], exec
	s_or_b64 s[6:7], s[6:7], s[0:1]
	s_or_b64 s[10:11], s[10:11], s[14:15]
	v_mov_b32_e32 v1, v3
	s_branch .LBB78_31
.LBB78_34:
	s_endpgm
	.section	.rodata,"a",@progbits
	.p2align	6, 0x0
	.amdhsa_kernel _ZN9rocsparseL18kernel_nrminf_diffILj1024EfEEvmPKT0_S3_PNS_15floating_traitsIS1_E6data_tEPKS6_
		.amdhsa_group_segment_fixed_size 4096
		.amdhsa_private_segment_fixed_size 0
		.amdhsa_kernarg_size 40
		.amdhsa_user_sgpr_count 6
		.amdhsa_user_sgpr_private_segment_buffer 1
		.amdhsa_user_sgpr_dispatch_ptr 0
		.amdhsa_user_sgpr_queue_ptr 0
		.amdhsa_user_sgpr_kernarg_segment_ptr 1
		.amdhsa_user_sgpr_dispatch_id 0
		.amdhsa_user_sgpr_flat_scratch_init 0
		.amdhsa_user_sgpr_kernarg_preload_length 0
		.amdhsa_user_sgpr_kernarg_preload_offset 0
		.amdhsa_user_sgpr_private_segment_size 0
		.amdhsa_uses_dynamic_stack 0
		.amdhsa_system_sgpr_private_segment_wavefront_offset 0
		.amdhsa_system_sgpr_workgroup_id_x 1
		.amdhsa_system_sgpr_workgroup_id_y 0
		.amdhsa_system_sgpr_workgroup_id_z 0
		.amdhsa_system_sgpr_workgroup_info 0
		.amdhsa_system_vgpr_workitem_id 0
		.amdhsa_next_free_vgpr 8
		.amdhsa_next_free_sgpr 16
		.amdhsa_accum_offset 8
		.amdhsa_reserve_vcc 1
		.amdhsa_reserve_flat_scratch 0
		.amdhsa_float_round_mode_32 0
		.amdhsa_float_round_mode_16_64 0
		.amdhsa_float_denorm_mode_32 3
		.amdhsa_float_denorm_mode_16_64 3
		.amdhsa_dx10_clamp 1
		.amdhsa_ieee_mode 1
		.amdhsa_fp16_overflow 0
		.amdhsa_tg_split 0
		.amdhsa_exception_fp_ieee_invalid_op 0
		.amdhsa_exception_fp_denorm_src 0
		.amdhsa_exception_fp_ieee_div_zero 0
		.amdhsa_exception_fp_ieee_overflow 0
		.amdhsa_exception_fp_ieee_underflow 0
		.amdhsa_exception_fp_ieee_inexact 0
		.amdhsa_exception_int_div_zero 0
	.end_amdhsa_kernel
	.section	.text._ZN9rocsparseL18kernel_nrminf_diffILj1024EfEEvmPKT0_S3_PNS_15floating_traitsIS1_E6data_tEPKS6_,"axG",@progbits,_ZN9rocsparseL18kernel_nrminf_diffILj1024EfEEvmPKT0_S3_PNS_15floating_traitsIS1_E6data_tEPKS6_,comdat
.Lfunc_end78:
	.size	_ZN9rocsparseL18kernel_nrminf_diffILj1024EfEEvmPKT0_S3_PNS_15floating_traitsIS1_E6data_tEPKS6_, .Lfunc_end78-_ZN9rocsparseL18kernel_nrminf_diffILj1024EfEEvmPKT0_S3_PNS_15floating_traitsIS1_E6data_tEPKS6_
                                        ; -- End function
	.section	.AMDGPU.csdata,"",@progbits
; Kernel info:
; codeLenInByte = 1160
; NumSgprs: 20
; NumVgprs: 8
; NumAgprs: 0
; TotalNumVgprs: 8
; ScratchSize: 0
; MemoryBound: 0
; FloatMode: 240
; IeeeMode: 1
; LDSByteSize: 4096 bytes/workgroup (compile time only)
; SGPRBlocks: 2
; VGPRBlocks: 0
; NumSGPRsForWavesPerEU: 20
; NumVGPRsForWavesPerEU: 8
; AccumOffset: 8
; Occupancy: 8
; WaveLimiterHint : 0
; COMPUTE_PGM_RSRC2:SCRATCH_EN: 0
; COMPUTE_PGM_RSRC2:USER_SGPR: 6
; COMPUTE_PGM_RSRC2:TRAP_HANDLER: 0
; COMPUTE_PGM_RSRC2:TGID_X_EN: 1
; COMPUTE_PGM_RSRC2:TGID_Y_EN: 0
; COMPUTE_PGM_RSRC2:TGID_Z_EN: 0
; COMPUTE_PGM_RSRC2:TIDIG_COMP_CNT: 0
; COMPUTE_PGM_RSRC3_GFX90A:ACCUM_OFFSET: 1
; COMPUTE_PGM_RSRC3_GFX90A:TG_SPLIT: 0
	.section	.text._ZN9rocsparseL13kernel_nrminfILj1024EfEEvmPKT0_PNS_15floating_traitsIS1_E6data_tEPKS6_,"axG",@progbits,_ZN9rocsparseL13kernel_nrminfILj1024EfEEvmPKT0_PNS_15floating_traitsIS1_E6data_tEPKS6_,comdat
	.globl	_ZN9rocsparseL13kernel_nrminfILj1024EfEEvmPKT0_PNS_15floating_traitsIS1_E6data_tEPKS6_ ; -- Begin function _ZN9rocsparseL13kernel_nrminfILj1024EfEEvmPKT0_PNS_15floating_traitsIS1_E6data_tEPKS6_
	.p2align	8
	.type	_ZN9rocsparseL13kernel_nrminfILj1024EfEEvmPKT0_PNS_15floating_traitsIS1_E6data_tEPKS6_,@function
_ZN9rocsparseL13kernel_nrminfILj1024EfEEvmPKT0_PNS_15floating_traitsIS1_E6data_tEPKS6_: ; @_ZN9rocsparseL13kernel_nrminfILj1024EfEEvmPKT0_PNS_15floating_traitsIS1_E6data_tEPKS6_
; %bb.0:
	s_load_dwordx2 s[0:1], s[4:5], 0x0
	v_lshl_or_b32 v2, s6, 10, v0
	v_mov_b32_e32 v3, 0
	s_waitcnt lgkmcnt(0)
	v_cmp_gt_u64_e32 vcc, s[0:1], v[2:3]
	s_and_saveexec_b64 s[0:1], vcc
	s_cbranch_execz .LBB79_2
; %bb.1:
	s_load_dwordx2 s[2:3], s[4:5], 0x8
	v_lshlrev_b64 v[2:3], 2, v[2:3]
	s_waitcnt lgkmcnt(0)
	v_mov_b32_e32 v1, s3
	v_add_co_u32_e32 v2, vcc, s2, v2
	v_addc_co_u32_e32 v3, vcc, v1, v3, vcc
	global_load_dword v1, v[2:3], off
	s_waitcnt vmcnt(0)
	v_and_b32_e32 v3, 0x7fffffff, v1
.LBB79_2:
	s_or_b64 exec, exec, s[0:1]
	s_movk_i32 s0, 0x200
	v_lshlrev_b32_e32 v1, 2, v0
	v_cmp_gt_u32_e32 vcc, s0, v0
	ds_write_b32 v1, v3
	s_waitcnt lgkmcnt(0)
	s_barrier
	s_and_saveexec_b64 s[0:1], vcc
	s_cbranch_execz .LBB79_4
; %bb.3:
	ds_read2st64_b32 v[2:3], v1 offset1:8
	s_waitcnt lgkmcnt(0)
	v_cmp_lt_f32_e32 vcc, v2, v3
	v_cndmask_b32_e32 v2, v2, v3, vcc
	ds_write_b32 v1, v2
.LBB79_4:
	s_or_b64 exec, exec, s[0:1]
	s_movk_i32 s0, 0x100
	v_cmp_gt_u32_e32 vcc, s0, v0
	s_waitcnt lgkmcnt(0)
	s_barrier
	s_and_saveexec_b64 s[0:1], vcc
	s_cbranch_execz .LBB79_6
; %bb.5:
	ds_read2st64_b32 v[2:3], v1 offset1:4
	s_waitcnt lgkmcnt(0)
	v_cmp_lt_f32_e32 vcc, v2, v3
	v_cndmask_b32_e32 v2, v2, v3, vcc
	ds_write_b32 v1, v2
.LBB79_6:
	s_or_b64 exec, exec, s[0:1]
	s_movk_i32 s0, 0x80
	v_cmp_gt_u32_e32 vcc, s0, v0
	s_waitcnt lgkmcnt(0)
	s_barrier
	s_and_saveexec_b64 s[0:1], vcc
	s_cbranch_execz .LBB79_8
; %bb.7:
	ds_read2st64_b32 v[2:3], v1 offset1:2
	s_waitcnt lgkmcnt(0)
	v_cmp_lt_f32_e32 vcc, v2, v3
	v_cndmask_b32_e32 v2, v2, v3, vcc
	ds_write_b32 v1, v2
.LBB79_8:
	s_or_b64 exec, exec, s[0:1]
	v_cmp_gt_u32_e32 vcc, 64, v0
	s_waitcnt lgkmcnt(0)
	s_barrier
	s_and_saveexec_b64 s[0:1], vcc
	s_cbranch_execz .LBB79_10
; %bb.9:
	ds_read2st64_b32 v[2:3], v1 offset1:1
	s_waitcnt lgkmcnt(0)
	v_cmp_lt_f32_e32 vcc, v2, v3
	v_cndmask_b32_e32 v2, v2, v3, vcc
	ds_write_b32 v1, v2
.LBB79_10:
	s_or_b64 exec, exec, s[0:1]
	v_cmp_gt_u32_e32 vcc, 32, v0
	s_waitcnt lgkmcnt(0)
	s_barrier
	s_and_saveexec_b64 s[0:1], vcc
	s_cbranch_execz .LBB79_12
; %bb.11:
	ds_read2_b32 v[2:3], v1 offset1:32
	s_waitcnt lgkmcnt(0)
	v_cmp_lt_f32_e32 vcc, v2, v3
	v_cndmask_b32_e32 v2, v2, v3, vcc
	ds_write_b32 v1, v2
.LBB79_12:
	s_or_b64 exec, exec, s[0:1]
	v_cmp_gt_u32_e32 vcc, 16, v0
	s_waitcnt lgkmcnt(0)
	s_barrier
	s_and_saveexec_b64 s[0:1], vcc
	s_cbranch_execz .LBB79_14
; %bb.13:
	ds_read2_b32 v[2:3], v1 offset1:16
	s_waitcnt lgkmcnt(0)
	v_cmp_lt_f32_e32 vcc, v2, v3
	v_cndmask_b32_e32 v2, v2, v3, vcc
	ds_write_b32 v1, v2
.LBB79_14:
	;; [unrolled: 13-line block ×5, first 2 shown]
	s_or_b64 exec, exec, s[0:1]
	v_cmp_eq_u32_e32 vcc, 0, v0
	s_waitcnt lgkmcnt(0)
	s_barrier
	s_and_saveexec_b64 s[2:3], vcc
	s_cbranch_execz .LBB79_22
; %bb.21:
	v_mov_b32_e32 v2, 0
	ds_read_b64 v[0:1], v2
	s_waitcnt lgkmcnt(0)
	v_cmp_lt_f32_e64 s[0:1], v0, v1
	v_cndmask_b32_e64 v0, v0, v1, s[0:1]
	ds_write_b32 v2, v0
.LBB79_22:
	s_or_b64 exec, exec, s[2:3]
	s_waitcnt lgkmcnt(0)
	s_barrier
	s_and_saveexec_b64 s[0:1], vcc
	s_cbranch_execz .LBB79_34
; %bb.23:
	s_load_dwordx4 s[4:7], s[4:5], 0x10
	v_mov_b32_e32 v1, 0
	ds_read_b32 v0, v1
	s_mov_b64 s[2:3], 0
	s_waitcnt lgkmcnt(0)
	s_cmp_eq_u64 s[6:7], 0
	s_cbranch_scc1 .LBB79_29
; %bb.24:
	s_load_dword s6, s[6:7], 0x0
	global_load_dword v3, v1, s[4:5] glc
                                        ; implicit-def: $sgpr10_sgpr11
	s_waitcnt lgkmcnt(0)
	v_div_scale_f32 v2, s[0:1], s6, s6, v0
	v_rcp_f32_e32 v4, v2
	v_div_scale_f32 v5, vcc, v0, s6, v0
	s_brev_b32 s0, 1
	v_fma_f32 v6, -v2, v4, 1.0
	v_fmac_f32_e32 v4, v6, v4
	v_mul_f32_e32 v6, v5, v4
	v_fma_f32 v7, -v2, v6, v5
	v_fmac_f32_e32 v6, v7, v4
	v_fma_f32 v2, -v2, v6, v5
	v_div_fmas_f32 v2, v2, v4, v6
	v_div_fixup_f32 v2, v2, s6, v0
	v_cmp_eq_f32_e32 vcc, 0, v2
                                        ; implicit-def: $sgpr6_sgpr7
	s_waitcnt vmcnt(0)
	v_cmp_eq_u32_e64 s[8:9], s0, v3
	s_branch .LBB79_26
.LBB79_25:                              ;   in Loop: Header=BB79_26 Depth=1
	s_or_b64 exec, exec, s[12:13]
	s_and_b64 s[0:1], exec, s[6:7]
	s_or_b64 s[2:3], s[0:1], s[2:3]
	s_andn2_b64 s[0:1], s[8:9], exec
	s_and_b64 s[8:9], s[10:11], exec
	s_or_b64 s[8:9], s[0:1], s[8:9]
	s_andn2_b64 exec, exec, s[2:3]
	s_cbranch_execz .LBB79_28
.LBB79_26:                              ; =>This Inner Loop Header: Depth=1
	v_cmp_lt_f32_e64 s[0:1], v3, v2
	s_and_b64 s[12:13], vcc, s[8:9]
	s_or_b64 s[0:1], s[0:1], s[12:13]
	s_andn2_b64 s[10:11], s[10:11], exec
	s_or_b64 s[6:7], s[6:7], exec
	s_and_saveexec_b64 s[12:13], s[0:1]
	s_cbranch_execz .LBB79_25
; %bb.27:                               ;   in Loop: Header=BB79_26 Depth=1
	global_atomic_cmpswap v4, v1, v[2:3], s[4:5] glc
	s_andn2_b64 s[10:11], s[10:11], exec
	s_andn2_b64 s[6:7], s[6:7], exec
                                        ; implicit-def: $sgpr8_sgpr9
	s_waitcnt vmcnt(0)
	v_cmp_eq_u32_e64 s[0:1], v4, v3
	v_cndmask_b32_e64 v3, v4, v3, s[0:1]
	v_cmp_class_f32_e64 s[14:15], v3, 32
	s_and_b64 s[0:1], s[0:1], exec
	s_and_b64 s[14:15], s[14:15], exec
	s_or_b64 s[6:7], s[6:7], s[0:1]
	s_or_b64 s[10:11], s[10:11], s[14:15]
	v_mov_b32_e32 v3, v4
	s_branch .LBB79_25
.LBB79_28:
	s_or_b64 exec, exec, s[2:3]
	s_branch .LBB79_34
.LBB79_29:
	s_cbranch_execz .LBB79_34
; %bb.30:
	v_mov_b32_e32 v2, 0
	global_load_dword v1, v2, s[4:5] glc
	s_brev_b32 s0, 1
	v_cmp_eq_f32_e32 vcc, 0, v0
	s_mov_b64 s[2:3], 0
                                        ; implicit-def: $sgpr6_sgpr7
                                        ; implicit-def: $sgpr10_sgpr11
	s_waitcnt vmcnt(0)
	v_cmp_eq_u32_e64 s[8:9], s0, v1
	s_branch .LBB79_32
.LBB79_31:                              ;   in Loop: Header=BB79_32 Depth=1
	s_or_b64 exec, exec, s[12:13]
	s_and_b64 s[0:1], exec, s[6:7]
	s_or_b64 s[2:3], s[0:1], s[2:3]
	s_andn2_b64 s[0:1], s[8:9], exec
	s_and_b64 s[8:9], s[10:11], exec
	s_or_b64 s[8:9], s[0:1], s[8:9]
	s_andn2_b64 exec, exec, s[2:3]
	s_cbranch_execz .LBB79_34
.LBB79_32:                              ; =>This Inner Loop Header: Depth=1
	v_cmp_lt_f32_e64 s[0:1], v1, v0
	s_and_b64 s[12:13], vcc, s[8:9]
	s_or_b64 s[0:1], s[0:1], s[12:13]
	s_andn2_b64 s[10:11], s[10:11], exec
	s_or_b64 s[6:7], s[6:7], exec
	s_and_saveexec_b64 s[12:13], s[0:1]
	s_cbranch_execz .LBB79_31
; %bb.33:                               ;   in Loop: Header=BB79_32 Depth=1
	global_atomic_cmpswap v3, v2, v[0:1], s[4:5] glc
	s_andn2_b64 s[10:11], s[10:11], exec
	s_andn2_b64 s[6:7], s[6:7], exec
                                        ; implicit-def: $sgpr8_sgpr9
	s_waitcnt vmcnt(0)
	v_cmp_eq_u32_e64 s[0:1], v3, v1
	v_cndmask_b32_e64 v1, v3, v1, s[0:1]
	v_cmp_class_f32_e64 s[14:15], v1, 32
	s_and_b64 s[0:1], s[0:1], exec
	s_and_b64 s[14:15], s[14:15], exec
	s_or_b64 s[6:7], s[6:7], s[0:1]
	s_or_b64 s[10:11], s[10:11], s[14:15]
	v_mov_b32_e32 v1, v3
	s_branch .LBB79_31
.LBB79_34:
	s_endpgm
	.section	.rodata,"a",@progbits
	.p2align	6, 0x0
	.amdhsa_kernel _ZN9rocsparseL13kernel_nrminfILj1024EfEEvmPKT0_PNS_15floating_traitsIS1_E6data_tEPKS6_
		.amdhsa_group_segment_fixed_size 4096
		.amdhsa_private_segment_fixed_size 0
		.amdhsa_kernarg_size 32
		.amdhsa_user_sgpr_count 6
		.amdhsa_user_sgpr_private_segment_buffer 1
		.amdhsa_user_sgpr_dispatch_ptr 0
		.amdhsa_user_sgpr_queue_ptr 0
		.amdhsa_user_sgpr_kernarg_segment_ptr 1
		.amdhsa_user_sgpr_dispatch_id 0
		.amdhsa_user_sgpr_flat_scratch_init 0
		.amdhsa_user_sgpr_kernarg_preload_length 0
		.amdhsa_user_sgpr_kernarg_preload_offset 0
		.amdhsa_user_sgpr_private_segment_size 0
		.amdhsa_uses_dynamic_stack 0
		.amdhsa_system_sgpr_private_segment_wavefront_offset 0
		.amdhsa_system_sgpr_workgroup_id_x 1
		.amdhsa_system_sgpr_workgroup_id_y 0
		.amdhsa_system_sgpr_workgroup_id_z 0
		.amdhsa_system_sgpr_workgroup_info 0
		.amdhsa_system_vgpr_workitem_id 0
		.amdhsa_next_free_vgpr 8
		.amdhsa_next_free_sgpr 16
		.amdhsa_accum_offset 8
		.amdhsa_reserve_vcc 1
		.amdhsa_reserve_flat_scratch 0
		.amdhsa_float_round_mode_32 0
		.amdhsa_float_round_mode_16_64 0
		.amdhsa_float_denorm_mode_32 3
		.amdhsa_float_denorm_mode_16_64 3
		.amdhsa_dx10_clamp 1
		.amdhsa_ieee_mode 1
		.amdhsa_fp16_overflow 0
		.amdhsa_tg_split 0
		.amdhsa_exception_fp_ieee_invalid_op 0
		.amdhsa_exception_fp_denorm_src 0
		.amdhsa_exception_fp_ieee_div_zero 0
		.amdhsa_exception_fp_ieee_overflow 0
		.amdhsa_exception_fp_ieee_underflow 0
		.amdhsa_exception_fp_ieee_inexact 0
		.amdhsa_exception_int_div_zero 0
	.end_amdhsa_kernel
	.section	.text._ZN9rocsparseL13kernel_nrminfILj1024EfEEvmPKT0_PNS_15floating_traitsIS1_E6data_tEPKS6_,"axG",@progbits,_ZN9rocsparseL13kernel_nrminfILj1024EfEEvmPKT0_PNS_15floating_traitsIS1_E6data_tEPKS6_,comdat
.Lfunc_end79:
	.size	_ZN9rocsparseL13kernel_nrminfILj1024EfEEvmPKT0_PNS_15floating_traitsIS1_E6data_tEPKS6_, .Lfunc_end79-_ZN9rocsparseL13kernel_nrminfILj1024EfEEvmPKT0_PNS_15floating_traitsIS1_E6data_tEPKS6_
                                        ; -- End function
	.section	.AMDGPU.csdata,"",@progbits
; Kernel info:
; codeLenInByte = 1136
; NumSgprs: 20
; NumVgprs: 8
; NumAgprs: 0
; TotalNumVgprs: 8
; ScratchSize: 0
; MemoryBound: 0
; FloatMode: 240
; IeeeMode: 1
; LDSByteSize: 4096 bytes/workgroup (compile time only)
; SGPRBlocks: 2
; VGPRBlocks: 0
; NumSGPRsForWavesPerEU: 20
; NumVGPRsForWavesPerEU: 8
; AccumOffset: 8
; Occupancy: 8
; WaveLimiterHint : 0
; COMPUTE_PGM_RSRC2:SCRATCH_EN: 0
; COMPUTE_PGM_RSRC2:USER_SGPR: 6
; COMPUTE_PGM_RSRC2:TRAP_HANDLER: 0
; COMPUTE_PGM_RSRC2:TGID_X_EN: 1
; COMPUTE_PGM_RSRC2:TGID_Y_EN: 0
; COMPUTE_PGM_RSRC2:TGID_Z_EN: 0
; COMPUTE_PGM_RSRC2:TIDIG_COMP_CNT: 0
; COMPUTE_PGM_RSRC3_GFX90A:ACCUM_OFFSET: 1
; COMPUTE_PGM_RSRC3_GFX90A:TG_SPLIT: 0
	.section	.text._ZN9rocsparseL18kernel_nrminf_diffILj1024EdEEvmPKT0_S3_PNS_15floating_traitsIS1_E6data_tEPKS6_,"axG",@progbits,_ZN9rocsparseL18kernel_nrminf_diffILj1024EdEEvmPKT0_S3_PNS_15floating_traitsIS1_E6data_tEPKS6_,comdat
	.globl	_ZN9rocsparseL18kernel_nrminf_diffILj1024EdEEvmPKT0_S3_PNS_15floating_traitsIS1_E6data_tEPKS6_ ; -- Begin function _ZN9rocsparseL18kernel_nrminf_diffILj1024EdEEvmPKT0_S3_PNS_15floating_traitsIS1_E6data_tEPKS6_
	.p2align	8
	.type	_ZN9rocsparseL18kernel_nrminf_diffILj1024EdEEvmPKT0_S3_PNS_15floating_traitsIS1_E6data_tEPKS6_,@function
_ZN9rocsparseL18kernel_nrminf_diffILj1024EdEEvmPKT0_S3_PNS_15floating_traitsIS1_E6data_tEPKS6_: ; @_ZN9rocsparseL18kernel_nrminf_diffILj1024EdEEvmPKT0_S3_PNS_15floating_traitsIS1_E6data_tEPKS6_
; %bb.0:
	s_load_dwordx2 s[0:1], s[4:5], 0x0
	v_mov_b32_e32 v3, 0
	v_lshl_or_b32 v2, s6, 10, v0
	v_pk_mov_b32 v[4:5], 0, 0
	s_waitcnt lgkmcnt(0)
	v_cmp_gt_u64_e32 vcc, s[0:1], v[2:3]
	s_and_saveexec_b64 s[0:1], vcc
	s_cbranch_execz .LBB80_2
; %bb.1:
	s_load_dwordx4 s[8:11], s[4:5], 0x8
	v_lshlrev_b64 v[2:3], 3, v[2:3]
	s_waitcnt lgkmcnt(0)
	v_mov_b32_e32 v1, s11
	v_add_co_u32_e32 v4, vcc, s10, v2
	v_addc_co_u32_e32 v5, vcc, v1, v3, vcc
	v_mov_b32_e32 v1, s9
	v_add_co_u32_e32 v2, vcc, s8, v2
	v_addc_co_u32_e32 v3, vcc, v1, v3, vcc
	global_load_dwordx2 v[6:7], v[2:3], off
	global_load_dwordx2 v[8:9], v[4:5], off
	s_waitcnt vmcnt(0)
	v_add_f64 v[4:5], v[6:7], -v[8:9]
	v_and_b32_e32 v5, 0x7fffffff, v5
.LBB80_2:
	s_or_b64 exec, exec, s[0:1]
	s_movk_i32 s0, 0x200
	v_lshlrev_b32_e32 v1, 3, v0
	v_cmp_gt_u32_e32 vcc, s0, v0
	ds_write_b64 v1, v[4:5]
	s_waitcnt lgkmcnt(0)
	s_barrier
	s_and_saveexec_b64 s[0:1], vcc
	s_cbranch_execz .LBB80_4
; %bb.3:
	ds_read2st64_b64 v[2:5], v1 offset1:8
	s_waitcnt lgkmcnt(0)
	v_cmp_lt_f64_e32 vcc, v[2:3], v[4:5]
	v_cndmask_b32_e32 v3, v3, v5, vcc
	v_cndmask_b32_e32 v2, v2, v4, vcc
	ds_write_b64 v1, v[2:3]
.LBB80_4:
	s_or_b64 exec, exec, s[0:1]
	s_movk_i32 s0, 0x100
	v_cmp_gt_u32_e32 vcc, s0, v0
	s_waitcnt lgkmcnt(0)
	s_barrier
	s_and_saveexec_b64 s[0:1], vcc
	s_cbranch_execz .LBB80_6
; %bb.5:
	ds_read2st64_b64 v[2:5], v1 offset1:4
	s_waitcnt lgkmcnt(0)
	v_cmp_lt_f64_e32 vcc, v[2:3], v[4:5]
	v_cndmask_b32_e32 v3, v3, v5, vcc
	v_cndmask_b32_e32 v2, v2, v4, vcc
	ds_write_b64 v1, v[2:3]
.LBB80_6:
	s_or_b64 exec, exec, s[0:1]
	s_movk_i32 s0, 0x80
	v_cmp_gt_u32_e32 vcc, s0, v0
	s_waitcnt lgkmcnt(0)
	s_barrier
	s_and_saveexec_b64 s[0:1], vcc
	s_cbranch_execz .LBB80_8
; %bb.7:
	ds_read2st64_b64 v[2:5], v1 offset1:2
	s_waitcnt lgkmcnt(0)
	v_cmp_lt_f64_e32 vcc, v[2:3], v[4:5]
	v_cndmask_b32_e32 v3, v3, v5, vcc
	v_cndmask_b32_e32 v2, v2, v4, vcc
	ds_write_b64 v1, v[2:3]
.LBB80_8:
	s_or_b64 exec, exec, s[0:1]
	v_cmp_gt_u32_e32 vcc, 64, v0
	s_waitcnt lgkmcnt(0)
	s_barrier
	s_and_saveexec_b64 s[0:1], vcc
	s_cbranch_execz .LBB80_10
; %bb.9:
	ds_read2st64_b64 v[2:5], v1 offset1:1
	s_waitcnt lgkmcnt(0)
	v_cmp_lt_f64_e32 vcc, v[2:3], v[4:5]
	v_cndmask_b32_e32 v3, v3, v5, vcc
	v_cndmask_b32_e32 v2, v2, v4, vcc
	ds_write_b64 v1, v[2:3]
.LBB80_10:
	s_or_b64 exec, exec, s[0:1]
	v_cmp_gt_u32_e32 vcc, 32, v0
	s_waitcnt lgkmcnt(0)
	s_barrier
	s_and_saveexec_b64 s[0:1], vcc
	s_cbranch_execz .LBB80_12
; %bb.11:
	ds_read2_b64 v[2:5], v1 offset1:32
	s_waitcnt lgkmcnt(0)
	v_cmp_lt_f64_e32 vcc, v[2:3], v[4:5]
	v_cndmask_b32_e32 v3, v3, v5, vcc
	v_cndmask_b32_e32 v2, v2, v4, vcc
	ds_write_b64 v1, v[2:3]
.LBB80_12:
	s_or_b64 exec, exec, s[0:1]
	v_cmp_gt_u32_e32 vcc, 16, v0
	s_waitcnt lgkmcnt(0)
	s_barrier
	s_and_saveexec_b64 s[0:1], vcc
	s_cbranch_execz .LBB80_14
; %bb.13:
	ds_read2_b64 v[2:5], v1 offset1:16
	s_waitcnt lgkmcnt(0)
	v_cmp_lt_f64_e32 vcc, v[2:3], v[4:5]
	v_cndmask_b32_e32 v3, v3, v5, vcc
	v_cndmask_b32_e32 v2, v2, v4, vcc
	ds_write_b64 v1, v[2:3]
.LBB80_14:
	;; [unrolled: 14-line block ×5, first 2 shown]
	s_or_b64 exec, exec, s[0:1]
	v_cmp_eq_u32_e32 vcc, 0, v0
	s_waitcnt lgkmcnt(0)
	s_barrier
	s_and_saveexec_b64 s[2:3], vcc
	s_cbranch_execz .LBB80_22
; %bb.21:
	v_mov_b32_e32 v4, 0
	ds_read_b128 v[0:3], v4
	s_waitcnt lgkmcnt(0)
	v_cmp_lt_f64_e64 s[0:1], v[0:1], v[2:3]
	v_cndmask_b32_e64 v1, v1, v3, s[0:1]
	v_cndmask_b32_e64 v0, v0, v2, s[0:1]
	ds_write_b64 v4, v[0:1]
.LBB80_22:
	s_or_b64 exec, exec, s[2:3]
	s_waitcnt lgkmcnt(0)
	s_barrier
	s_and_saveexec_b64 s[0:1], vcc
	s_cbranch_execz .LBB80_34
; %bb.23:
	s_load_dwordx4 s[4:7], s[4:5], 0x18
	v_mov_b32_e32 v6, 0
	ds_read_b64 v[0:1], v6
	s_mov_b64 s[2:3], 0
	s_waitcnt lgkmcnt(0)
	s_cmp_eq_u64 s[6:7], 0
	s_cbranch_scc1 .LBB80_29
; %bb.24:
	s_load_dwordx2 s[0:1], s[6:7], 0x0
	global_load_dwordx2 v[4:5], v6, s[4:5] glc
                                        ; implicit-def: $sgpr8_sgpr9
	s_waitcnt lgkmcnt(0)
	v_div_scale_f64 v[2:3], s[6:7], s[0:1], s[0:1], v[0:1]
	v_rcp_f64_e32 v[8:9], v[2:3]
	v_div_scale_f64 v[10:11], vcc, v[0:1], s[0:1], v[0:1]
	s_mov_b32 s6, 0
	v_fma_f64 v[12:13], -v[2:3], v[8:9], 1.0
	v_fmac_f64_e32 v[8:9], v[8:9], v[12:13]
	v_fma_f64 v[12:13], -v[2:3], v[8:9], 1.0
	v_fmac_f64_e32 v[8:9], v[8:9], v[12:13]
	v_mul_f64 v[12:13], v[10:11], v[8:9]
	v_fma_f64 v[2:3], -v[2:3], v[12:13], v[10:11]
	v_div_fmas_f64 v[2:3], v[2:3], v[8:9], v[12:13]
	s_brev_b32 s7, 1
	v_div_fixup_f64 v[2:3], v[2:3], s[0:1], v[0:1]
	v_cmp_eq_f64_e32 vcc, 0, v[2:3]
	s_waitcnt vmcnt(0)
	v_cmp_eq_u64_e64 s[10:11], s[6:7], v[4:5]
                                        ; implicit-def: $sgpr6_sgpr7
	s_branch .LBB80_26
.LBB80_25:                              ;   in Loop: Header=BB80_26 Depth=1
	s_or_b64 exec, exec, s[12:13]
	s_and_b64 s[0:1], exec, s[6:7]
	s_or_b64 s[2:3], s[0:1], s[2:3]
	s_andn2_b64 s[0:1], s[10:11], exec
	s_and_b64 s[10:11], s[8:9], exec
	s_or_b64 s[10:11], s[0:1], s[10:11]
	s_andn2_b64 exec, exec, s[2:3]
	s_cbranch_execz .LBB80_28
.LBB80_26:                              ; =>This Inner Loop Header: Depth=1
	v_cmp_lt_f64_e64 s[0:1], v[4:5], v[2:3]
	s_and_b64 s[12:13], vcc, s[10:11]
	s_or_b64 s[0:1], s[0:1], s[12:13]
	s_andn2_b64 s[8:9], s[8:9], exec
	s_or_b64 s[6:7], s[6:7], exec
	s_and_saveexec_b64 s[12:13], s[0:1]
	s_cbranch_execz .LBB80_25
; %bb.27:                               ;   in Loop: Header=BB80_26 Depth=1
	global_atomic_cmpswap_x2 v[8:9], v6, v[2:5], s[4:5] glc
	s_andn2_b64 s[6:7], s[6:7], exec
	s_andn2_b64 s[8:9], s[8:9], exec
                                        ; implicit-def: $sgpr10_sgpr11
	s_waitcnt vmcnt(0)
	v_cmp_eq_u64_e64 s[0:1], v[8:9], v[4:5]
	v_cndmask_b32_e64 v5, v9, v5, s[0:1]
	v_cndmask_b32_e64 v4, v8, v4, s[0:1]
	s_and_b64 s[0:1], s[0:1], exec
	v_cmp_class_f64_e64 s[14:15], v[4:5], 32
	s_or_b64 s[6:7], s[6:7], s[0:1]
	s_and_b64 s[0:1], s[14:15], exec
	s_or_b64 s[8:9], s[8:9], s[0:1]
	v_pk_mov_b32 v[4:5], v[8:9], v[8:9] op_sel:[0,1]
	s_branch .LBB80_25
.LBB80_28:
	s_or_b64 exec, exec, s[2:3]
	s_branch .LBB80_34
.LBB80_29:
	s_cbranch_execz .LBB80_34
; %bb.30:
	v_mov_b32_e32 v4, 0
	global_load_dwordx2 v[2:3], v4, s[4:5] glc
	s_mov_b32 s0, 0
	s_brev_b32 s1, 1
	s_mov_b64 s[2:3], 0
	v_cmp_eq_f64_e32 vcc, 0, v[0:1]
                                        ; implicit-def: $sgpr6_sgpr7
                                        ; implicit-def: $sgpr8_sgpr9
	s_waitcnt vmcnt(0)
	v_cmp_eq_u64_e64 s[10:11], s[0:1], v[2:3]
	s_branch .LBB80_32
.LBB80_31:                              ;   in Loop: Header=BB80_32 Depth=1
	s_or_b64 exec, exec, s[12:13]
	s_and_b64 s[0:1], exec, s[6:7]
	s_or_b64 s[2:3], s[0:1], s[2:3]
	s_andn2_b64 s[0:1], s[10:11], exec
	s_and_b64 s[10:11], s[8:9], exec
	s_or_b64 s[10:11], s[0:1], s[10:11]
	s_andn2_b64 exec, exec, s[2:3]
	s_cbranch_execz .LBB80_34
.LBB80_32:                              ; =>This Inner Loop Header: Depth=1
	v_cmp_lt_f64_e64 s[0:1], v[2:3], v[0:1]
	s_and_b64 s[12:13], vcc, s[10:11]
	s_or_b64 s[0:1], s[0:1], s[12:13]
	s_andn2_b64 s[8:9], s[8:9], exec
	s_or_b64 s[6:7], s[6:7], exec
	s_and_saveexec_b64 s[12:13], s[0:1]
	s_cbranch_execz .LBB80_31
; %bb.33:                               ;   in Loop: Header=BB80_32 Depth=1
	global_atomic_cmpswap_x2 v[6:7], v4, v[0:3], s[4:5] glc
	s_andn2_b64 s[6:7], s[6:7], exec
	s_andn2_b64 s[8:9], s[8:9], exec
                                        ; implicit-def: $sgpr10_sgpr11
	s_waitcnt vmcnt(0)
	v_cmp_eq_u64_e64 s[0:1], v[6:7], v[2:3]
	v_cndmask_b32_e64 v3, v7, v3, s[0:1]
	v_cndmask_b32_e64 v2, v6, v2, s[0:1]
	s_and_b64 s[0:1], s[0:1], exec
	v_cmp_class_f64_e64 s[14:15], v[2:3], 32
	s_or_b64 s[6:7], s[6:7], s[0:1]
	s_and_b64 s[0:1], s[14:15], exec
	s_or_b64 s[8:9], s[8:9], s[0:1]
	v_pk_mov_b32 v[2:3], v[6:7], v[6:7] op_sel:[0,1]
	s_branch .LBB80_31
.LBB80_34:
	s_endpgm
	.section	.rodata,"a",@progbits
	.p2align	6, 0x0
	.amdhsa_kernel _ZN9rocsparseL18kernel_nrminf_diffILj1024EdEEvmPKT0_S3_PNS_15floating_traitsIS1_E6data_tEPKS6_
		.amdhsa_group_segment_fixed_size 8192
		.amdhsa_private_segment_fixed_size 0
		.amdhsa_kernarg_size 40
		.amdhsa_user_sgpr_count 6
		.amdhsa_user_sgpr_private_segment_buffer 1
		.amdhsa_user_sgpr_dispatch_ptr 0
		.amdhsa_user_sgpr_queue_ptr 0
		.amdhsa_user_sgpr_kernarg_segment_ptr 1
		.amdhsa_user_sgpr_dispatch_id 0
		.amdhsa_user_sgpr_flat_scratch_init 0
		.amdhsa_user_sgpr_kernarg_preload_length 0
		.amdhsa_user_sgpr_kernarg_preload_offset 0
		.amdhsa_user_sgpr_private_segment_size 0
		.amdhsa_uses_dynamic_stack 0
		.amdhsa_system_sgpr_private_segment_wavefront_offset 0
		.amdhsa_system_sgpr_workgroup_id_x 1
		.amdhsa_system_sgpr_workgroup_id_y 0
		.amdhsa_system_sgpr_workgroup_id_z 0
		.amdhsa_system_sgpr_workgroup_info 0
		.amdhsa_system_vgpr_workitem_id 0
		.amdhsa_next_free_vgpr 14
		.amdhsa_next_free_sgpr 16
		.amdhsa_accum_offset 16
		.amdhsa_reserve_vcc 1
		.amdhsa_reserve_flat_scratch 0
		.amdhsa_float_round_mode_32 0
		.amdhsa_float_round_mode_16_64 0
		.amdhsa_float_denorm_mode_32 3
		.amdhsa_float_denorm_mode_16_64 3
		.amdhsa_dx10_clamp 1
		.amdhsa_ieee_mode 1
		.amdhsa_fp16_overflow 0
		.amdhsa_tg_split 0
		.amdhsa_exception_fp_ieee_invalid_op 0
		.amdhsa_exception_fp_denorm_src 0
		.amdhsa_exception_fp_ieee_div_zero 0
		.amdhsa_exception_fp_ieee_overflow 0
		.amdhsa_exception_fp_ieee_underflow 0
		.amdhsa_exception_fp_ieee_inexact 0
		.amdhsa_exception_int_div_zero 0
	.end_amdhsa_kernel
	.section	.text._ZN9rocsparseL18kernel_nrminf_diffILj1024EdEEvmPKT0_S3_PNS_15floating_traitsIS1_E6data_tEPKS6_,"axG",@progbits,_ZN9rocsparseL18kernel_nrminf_diffILj1024EdEEvmPKT0_S3_PNS_15floating_traitsIS1_E6data_tEPKS6_,comdat
.Lfunc_end80:
	.size	_ZN9rocsparseL18kernel_nrminf_diffILj1024EdEEvmPKT0_S3_PNS_15floating_traitsIS1_E6data_tEPKS6_, .Lfunc_end80-_ZN9rocsparseL18kernel_nrminf_diffILj1024EdEEvmPKT0_S3_PNS_15floating_traitsIS1_E6data_tEPKS6_
                                        ; -- End function
	.section	.AMDGPU.csdata,"",@progbits
; Kernel info:
; codeLenInByte = 1252
; NumSgprs: 20
; NumVgprs: 14
; NumAgprs: 0
; TotalNumVgprs: 14
; ScratchSize: 0
; MemoryBound: 1
; FloatMode: 240
; IeeeMode: 1
; LDSByteSize: 8192 bytes/workgroup (compile time only)
; SGPRBlocks: 2
; VGPRBlocks: 1
; NumSGPRsForWavesPerEU: 20
; NumVGPRsForWavesPerEU: 14
; AccumOffset: 16
; Occupancy: 8
; WaveLimiterHint : 0
; COMPUTE_PGM_RSRC2:SCRATCH_EN: 0
; COMPUTE_PGM_RSRC2:USER_SGPR: 6
; COMPUTE_PGM_RSRC2:TRAP_HANDLER: 0
; COMPUTE_PGM_RSRC2:TGID_X_EN: 1
; COMPUTE_PGM_RSRC2:TGID_Y_EN: 0
; COMPUTE_PGM_RSRC2:TGID_Z_EN: 0
; COMPUTE_PGM_RSRC2:TIDIG_COMP_CNT: 0
; COMPUTE_PGM_RSRC3_GFX90A:ACCUM_OFFSET: 3
; COMPUTE_PGM_RSRC3_GFX90A:TG_SPLIT: 0
	.section	.text._ZN9rocsparseL13kernel_nrminfILj1024EdEEvmPKT0_PNS_15floating_traitsIS1_E6data_tEPKS6_,"axG",@progbits,_ZN9rocsparseL13kernel_nrminfILj1024EdEEvmPKT0_PNS_15floating_traitsIS1_E6data_tEPKS6_,comdat
	.globl	_ZN9rocsparseL13kernel_nrminfILj1024EdEEvmPKT0_PNS_15floating_traitsIS1_E6data_tEPKS6_ ; -- Begin function _ZN9rocsparseL13kernel_nrminfILj1024EdEEvmPKT0_PNS_15floating_traitsIS1_E6data_tEPKS6_
	.p2align	8
	.type	_ZN9rocsparseL13kernel_nrminfILj1024EdEEvmPKT0_PNS_15floating_traitsIS1_E6data_tEPKS6_,@function
_ZN9rocsparseL13kernel_nrminfILj1024EdEEvmPKT0_PNS_15floating_traitsIS1_E6data_tEPKS6_: ; @_ZN9rocsparseL13kernel_nrminfILj1024EdEEvmPKT0_PNS_15floating_traitsIS1_E6data_tEPKS6_
; %bb.0:
	s_load_dwordx2 s[0:1], s[4:5], 0x0
	v_mov_b32_e32 v5, 0
	v_lshl_or_b32 v4, s6, 10, v0
	v_pk_mov_b32 v[2:3], 0, 0
	s_waitcnt lgkmcnt(0)
	v_cmp_gt_u64_e32 vcc, s[0:1], v[4:5]
	s_and_saveexec_b64 s[0:1], vcc
	s_cbranch_execz .LBB81_2
; %bb.1:
	s_load_dwordx2 s[2:3], s[4:5], 0x8
	v_lshlrev_b64 v[2:3], 3, v[4:5]
	s_waitcnt lgkmcnt(0)
	v_mov_b32_e32 v1, s3
	v_add_co_u32_e32 v2, vcc, s2, v2
	v_addc_co_u32_e32 v3, vcc, v1, v3, vcc
	global_load_dwordx2 v[2:3], v[2:3], off
	s_waitcnt vmcnt(0)
	v_and_b32_e32 v3, 0x7fffffff, v3
.LBB81_2:
	s_or_b64 exec, exec, s[0:1]
	s_movk_i32 s0, 0x200
	v_lshlrev_b32_e32 v1, 3, v0
	v_cmp_gt_u32_e32 vcc, s0, v0
	ds_write_b64 v1, v[2:3]
	s_waitcnt lgkmcnt(0)
	s_barrier
	s_and_saveexec_b64 s[0:1], vcc
	s_cbranch_execz .LBB81_4
; %bb.3:
	ds_read2st64_b64 v[2:5], v1 offset1:8
	s_waitcnt lgkmcnt(0)
	v_cmp_lt_f64_e32 vcc, v[2:3], v[4:5]
	v_cndmask_b32_e32 v3, v3, v5, vcc
	v_cndmask_b32_e32 v2, v2, v4, vcc
	ds_write_b64 v1, v[2:3]
.LBB81_4:
	s_or_b64 exec, exec, s[0:1]
	s_movk_i32 s0, 0x100
	v_cmp_gt_u32_e32 vcc, s0, v0
	s_waitcnt lgkmcnt(0)
	s_barrier
	s_and_saveexec_b64 s[0:1], vcc
	s_cbranch_execz .LBB81_6
; %bb.5:
	ds_read2st64_b64 v[2:5], v1 offset1:4
	s_waitcnt lgkmcnt(0)
	v_cmp_lt_f64_e32 vcc, v[2:3], v[4:5]
	v_cndmask_b32_e32 v3, v3, v5, vcc
	v_cndmask_b32_e32 v2, v2, v4, vcc
	ds_write_b64 v1, v[2:3]
.LBB81_6:
	s_or_b64 exec, exec, s[0:1]
	s_movk_i32 s0, 0x80
	v_cmp_gt_u32_e32 vcc, s0, v0
	s_waitcnt lgkmcnt(0)
	s_barrier
	s_and_saveexec_b64 s[0:1], vcc
	s_cbranch_execz .LBB81_8
; %bb.7:
	ds_read2st64_b64 v[2:5], v1 offset1:2
	s_waitcnt lgkmcnt(0)
	v_cmp_lt_f64_e32 vcc, v[2:3], v[4:5]
	v_cndmask_b32_e32 v3, v3, v5, vcc
	v_cndmask_b32_e32 v2, v2, v4, vcc
	ds_write_b64 v1, v[2:3]
.LBB81_8:
	s_or_b64 exec, exec, s[0:1]
	v_cmp_gt_u32_e32 vcc, 64, v0
	s_waitcnt lgkmcnt(0)
	s_barrier
	s_and_saveexec_b64 s[0:1], vcc
	s_cbranch_execz .LBB81_10
; %bb.9:
	ds_read2st64_b64 v[2:5], v1 offset1:1
	s_waitcnt lgkmcnt(0)
	v_cmp_lt_f64_e32 vcc, v[2:3], v[4:5]
	v_cndmask_b32_e32 v3, v3, v5, vcc
	v_cndmask_b32_e32 v2, v2, v4, vcc
	ds_write_b64 v1, v[2:3]
.LBB81_10:
	s_or_b64 exec, exec, s[0:1]
	v_cmp_gt_u32_e32 vcc, 32, v0
	s_waitcnt lgkmcnt(0)
	s_barrier
	s_and_saveexec_b64 s[0:1], vcc
	s_cbranch_execz .LBB81_12
; %bb.11:
	ds_read2_b64 v[2:5], v1 offset1:32
	s_waitcnt lgkmcnt(0)
	v_cmp_lt_f64_e32 vcc, v[2:3], v[4:5]
	v_cndmask_b32_e32 v3, v3, v5, vcc
	v_cndmask_b32_e32 v2, v2, v4, vcc
	ds_write_b64 v1, v[2:3]
.LBB81_12:
	s_or_b64 exec, exec, s[0:1]
	v_cmp_gt_u32_e32 vcc, 16, v0
	s_waitcnt lgkmcnt(0)
	s_barrier
	s_and_saveexec_b64 s[0:1], vcc
	s_cbranch_execz .LBB81_14
; %bb.13:
	ds_read2_b64 v[2:5], v1 offset1:16
	s_waitcnt lgkmcnt(0)
	v_cmp_lt_f64_e32 vcc, v[2:3], v[4:5]
	v_cndmask_b32_e32 v3, v3, v5, vcc
	v_cndmask_b32_e32 v2, v2, v4, vcc
	ds_write_b64 v1, v[2:3]
.LBB81_14:
	;; [unrolled: 14-line block ×5, first 2 shown]
	s_or_b64 exec, exec, s[0:1]
	v_cmp_eq_u32_e32 vcc, 0, v0
	s_waitcnt lgkmcnt(0)
	s_barrier
	s_and_saveexec_b64 s[2:3], vcc
	s_cbranch_execz .LBB81_22
; %bb.21:
	v_mov_b32_e32 v4, 0
	ds_read_b128 v[0:3], v4
	s_waitcnt lgkmcnt(0)
	v_cmp_lt_f64_e64 s[0:1], v[0:1], v[2:3]
	v_cndmask_b32_e64 v1, v1, v3, s[0:1]
	v_cndmask_b32_e64 v0, v0, v2, s[0:1]
	ds_write_b64 v4, v[0:1]
.LBB81_22:
	s_or_b64 exec, exec, s[2:3]
	s_waitcnt lgkmcnt(0)
	s_barrier
	s_and_saveexec_b64 s[0:1], vcc
	s_cbranch_execz .LBB81_34
; %bb.23:
	s_load_dwordx4 s[4:7], s[4:5], 0x10
	v_mov_b32_e32 v6, 0
	ds_read_b64 v[0:1], v6
	s_mov_b64 s[2:3], 0
	s_waitcnt lgkmcnt(0)
	s_cmp_eq_u64 s[6:7], 0
	s_cbranch_scc1 .LBB81_29
; %bb.24:
	s_load_dwordx2 s[0:1], s[6:7], 0x0
	global_load_dwordx2 v[4:5], v6, s[4:5] glc
                                        ; implicit-def: $sgpr8_sgpr9
	s_waitcnt lgkmcnt(0)
	v_div_scale_f64 v[2:3], s[6:7], s[0:1], s[0:1], v[0:1]
	v_rcp_f64_e32 v[8:9], v[2:3]
	v_div_scale_f64 v[10:11], vcc, v[0:1], s[0:1], v[0:1]
	s_mov_b32 s6, 0
	v_fma_f64 v[12:13], -v[2:3], v[8:9], 1.0
	v_fmac_f64_e32 v[8:9], v[8:9], v[12:13]
	v_fma_f64 v[12:13], -v[2:3], v[8:9], 1.0
	v_fmac_f64_e32 v[8:9], v[8:9], v[12:13]
	v_mul_f64 v[12:13], v[10:11], v[8:9]
	v_fma_f64 v[2:3], -v[2:3], v[12:13], v[10:11]
	v_div_fmas_f64 v[2:3], v[2:3], v[8:9], v[12:13]
	s_brev_b32 s7, 1
	v_div_fixup_f64 v[2:3], v[2:3], s[0:1], v[0:1]
	v_cmp_eq_f64_e32 vcc, 0, v[2:3]
	s_waitcnt vmcnt(0)
	v_cmp_eq_u64_e64 s[10:11], s[6:7], v[4:5]
                                        ; implicit-def: $sgpr6_sgpr7
	s_branch .LBB81_26
.LBB81_25:                              ;   in Loop: Header=BB81_26 Depth=1
	s_or_b64 exec, exec, s[12:13]
	s_and_b64 s[0:1], exec, s[6:7]
	s_or_b64 s[2:3], s[0:1], s[2:3]
	s_andn2_b64 s[0:1], s[10:11], exec
	s_and_b64 s[10:11], s[8:9], exec
	s_or_b64 s[10:11], s[0:1], s[10:11]
	s_andn2_b64 exec, exec, s[2:3]
	s_cbranch_execz .LBB81_28
.LBB81_26:                              ; =>This Inner Loop Header: Depth=1
	v_cmp_lt_f64_e64 s[0:1], v[4:5], v[2:3]
	s_and_b64 s[12:13], vcc, s[10:11]
	s_or_b64 s[0:1], s[0:1], s[12:13]
	s_andn2_b64 s[8:9], s[8:9], exec
	s_or_b64 s[6:7], s[6:7], exec
	s_and_saveexec_b64 s[12:13], s[0:1]
	s_cbranch_execz .LBB81_25
; %bb.27:                               ;   in Loop: Header=BB81_26 Depth=1
	global_atomic_cmpswap_x2 v[8:9], v6, v[2:5], s[4:5] glc
	s_andn2_b64 s[6:7], s[6:7], exec
	s_andn2_b64 s[8:9], s[8:9], exec
                                        ; implicit-def: $sgpr10_sgpr11
	s_waitcnt vmcnt(0)
	v_cmp_eq_u64_e64 s[0:1], v[8:9], v[4:5]
	v_cndmask_b32_e64 v5, v9, v5, s[0:1]
	v_cndmask_b32_e64 v4, v8, v4, s[0:1]
	s_and_b64 s[0:1], s[0:1], exec
	v_cmp_class_f64_e64 s[14:15], v[4:5], 32
	s_or_b64 s[6:7], s[6:7], s[0:1]
	s_and_b64 s[0:1], s[14:15], exec
	s_or_b64 s[8:9], s[8:9], s[0:1]
	v_pk_mov_b32 v[4:5], v[8:9], v[8:9] op_sel:[0,1]
	s_branch .LBB81_25
.LBB81_28:
	s_or_b64 exec, exec, s[2:3]
	s_branch .LBB81_34
.LBB81_29:
	s_cbranch_execz .LBB81_34
; %bb.30:
	v_mov_b32_e32 v4, 0
	global_load_dwordx2 v[2:3], v4, s[4:5] glc
	s_mov_b32 s0, 0
	s_brev_b32 s1, 1
	s_mov_b64 s[2:3], 0
	v_cmp_eq_f64_e32 vcc, 0, v[0:1]
                                        ; implicit-def: $sgpr6_sgpr7
                                        ; implicit-def: $sgpr8_sgpr9
	s_waitcnt vmcnt(0)
	v_cmp_eq_u64_e64 s[10:11], s[0:1], v[2:3]
	s_branch .LBB81_32
.LBB81_31:                              ;   in Loop: Header=BB81_32 Depth=1
	s_or_b64 exec, exec, s[12:13]
	s_and_b64 s[0:1], exec, s[6:7]
	s_or_b64 s[2:3], s[0:1], s[2:3]
	s_andn2_b64 s[0:1], s[10:11], exec
	s_and_b64 s[10:11], s[8:9], exec
	s_or_b64 s[10:11], s[0:1], s[10:11]
	s_andn2_b64 exec, exec, s[2:3]
	s_cbranch_execz .LBB81_34
.LBB81_32:                              ; =>This Inner Loop Header: Depth=1
	v_cmp_lt_f64_e64 s[0:1], v[2:3], v[0:1]
	s_and_b64 s[12:13], vcc, s[10:11]
	s_or_b64 s[0:1], s[0:1], s[12:13]
	s_andn2_b64 s[8:9], s[8:9], exec
	s_or_b64 s[6:7], s[6:7], exec
	s_and_saveexec_b64 s[12:13], s[0:1]
	s_cbranch_execz .LBB81_31
; %bb.33:                               ;   in Loop: Header=BB81_32 Depth=1
	global_atomic_cmpswap_x2 v[6:7], v4, v[0:3], s[4:5] glc
	s_andn2_b64 s[6:7], s[6:7], exec
	s_andn2_b64 s[8:9], s[8:9], exec
                                        ; implicit-def: $sgpr10_sgpr11
	s_waitcnt vmcnt(0)
	v_cmp_eq_u64_e64 s[0:1], v[6:7], v[2:3]
	v_cndmask_b32_e64 v3, v7, v3, s[0:1]
	v_cndmask_b32_e64 v2, v6, v2, s[0:1]
	s_and_b64 s[0:1], s[0:1], exec
	v_cmp_class_f64_e64 s[14:15], v[2:3], 32
	s_or_b64 s[6:7], s[6:7], s[0:1]
	s_and_b64 s[0:1], s[14:15], exec
	s_or_b64 s[8:9], s[8:9], s[0:1]
	v_pk_mov_b32 v[2:3], v[6:7], v[6:7] op_sel:[0,1]
	s_branch .LBB81_31
.LBB81_34:
	s_endpgm
	.section	.rodata,"a",@progbits
	.p2align	6, 0x0
	.amdhsa_kernel _ZN9rocsparseL13kernel_nrminfILj1024EdEEvmPKT0_PNS_15floating_traitsIS1_E6data_tEPKS6_
		.amdhsa_group_segment_fixed_size 8192
		.amdhsa_private_segment_fixed_size 0
		.amdhsa_kernarg_size 32
		.amdhsa_user_sgpr_count 6
		.amdhsa_user_sgpr_private_segment_buffer 1
		.amdhsa_user_sgpr_dispatch_ptr 0
		.amdhsa_user_sgpr_queue_ptr 0
		.amdhsa_user_sgpr_kernarg_segment_ptr 1
		.amdhsa_user_sgpr_dispatch_id 0
		.amdhsa_user_sgpr_flat_scratch_init 0
		.amdhsa_user_sgpr_kernarg_preload_length 0
		.amdhsa_user_sgpr_kernarg_preload_offset 0
		.amdhsa_user_sgpr_private_segment_size 0
		.amdhsa_uses_dynamic_stack 0
		.amdhsa_system_sgpr_private_segment_wavefront_offset 0
		.amdhsa_system_sgpr_workgroup_id_x 1
		.amdhsa_system_sgpr_workgroup_id_y 0
		.amdhsa_system_sgpr_workgroup_id_z 0
		.amdhsa_system_sgpr_workgroup_info 0
		.amdhsa_system_vgpr_workitem_id 0
		.amdhsa_next_free_vgpr 14
		.amdhsa_next_free_sgpr 16
		.amdhsa_accum_offset 16
		.amdhsa_reserve_vcc 1
		.amdhsa_reserve_flat_scratch 0
		.amdhsa_float_round_mode_32 0
		.amdhsa_float_round_mode_16_64 0
		.amdhsa_float_denorm_mode_32 3
		.amdhsa_float_denorm_mode_16_64 3
		.amdhsa_dx10_clamp 1
		.amdhsa_ieee_mode 1
		.amdhsa_fp16_overflow 0
		.amdhsa_tg_split 0
		.amdhsa_exception_fp_ieee_invalid_op 0
		.amdhsa_exception_fp_denorm_src 0
		.amdhsa_exception_fp_ieee_div_zero 0
		.amdhsa_exception_fp_ieee_overflow 0
		.amdhsa_exception_fp_ieee_underflow 0
		.amdhsa_exception_fp_ieee_inexact 0
		.amdhsa_exception_int_div_zero 0
	.end_amdhsa_kernel
	.section	.text._ZN9rocsparseL13kernel_nrminfILj1024EdEEvmPKT0_PNS_15floating_traitsIS1_E6data_tEPKS6_,"axG",@progbits,_ZN9rocsparseL13kernel_nrminfILj1024EdEEvmPKT0_PNS_15floating_traitsIS1_E6data_tEPKS6_,comdat
.Lfunc_end81:
	.size	_ZN9rocsparseL13kernel_nrminfILj1024EdEEvmPKT0_PNS_15floating_traitsIS1_E6data_tEPKS6_, .Lfunc_end81-_ZN9rocsparseL13kernel_nrminfILj1024EdEEvmPKT0_PNS_15floating_traitsIS1_E6data_tEPKS6_
                                        ; -- End function
	.section	.AMDGPU.csdata,"",@progbits
; Kernel info:
; codeLenInByte = 1224
; NumSgprs: 20
; NumVgprs: 14
; NumAgprs: 0
; TotalNumVgprs: 14
; ScratchSize: 0
; MemoryBound: 0
; FloatMode: 240
; IeeeMode: 1
; LDSByteSize: 8192 bytes/workgroup (compile time only)
; SGPRBlocks: 2
; VGPRBlocks: 1
; NumSGPRsForWavesPerEU: 20
; NumVGPRsForWavesPerEU: 14
; AccumOffset: 16
; Occupancy: 8
; WaveLimiterHint : 0
; COMPUTE_PGM_RSRC2:SCRATCH_EN: 0
; COMPUTE_PGM_RSRC2:USER_SGPR: 6
; COMPUTE_PGM_RSRC2:TRAP_HANDLER: 0
; COMPUTE_PGM_RSRC2:TGID_X_EN: 1
; COMPUTE_PGM_RSRC2:TGID_Y_EN: 0
; COMPUTE_PGM_RSRC2:TGID_Z_EN: 0
; COMPUTE_PGM_RSRC2:TIDIG_COMP_CNT: 0
; COMPUTE_PGM_RSRC3_GFX90A:ACCUM_OFFSET: 3
; COMPUTE_PGM_RSRC3_GFX90A:TG_SPLIT: 0
	.section	.text._ZN9rocsparseL18kernel_nrminf_diffILj1024E21rocsparse_complex_numIfEEEvmPKT0_S5_PNS_15floating_traitsIS3_E6data_tEPKS8_,"axG",@progbits,_ZN9rocsparseL18kernel_nrminf_diffILj1024E21rocsparse_complex_numIfEEEvmPKT0_S5_PNS_15floating_traitsIS3_E6data_tEPKS8_,comdat
	.globl	_ZN9rocsparseL18kernel_nrminf_diffILj1024E21rocsparse_complex_numIfEEEvmPKT0_S5_PNS_15floating_traitsIS3_E6data_tEPKS8_ ; -- Begin function _ZN9rocsparseL18kernel_nrminf_diffILj1024E21rocsparse_complex_numIfEEEvmPKT0_S5_PNS_15floating_traitsIS3_E6data_tEPKS8_
	.p2align	8
	.type	_ZN9rocsparseL18kernel_nrminf_diffILj1024E21rocsparse_complex_numIfEEEvmPKT0_S5_PNS_15floating_traitsIS3_E6data_tEPKS8_,@function
_ZN9rocsparseL18kernel_nrminf_diffILj1024E21rocsparse_complex_numIfEEEvmPKT0_S5_PNS_15floating_traitsIS3_E6data_tEPKS8_: ; @_ZN9rocsparseL18kernel_nrminf_diffILj1024E21rocsparse_complex_numIfEEEvmPKT0_S5_PNS_15floating_traitsIS3_E6data_tEPKS8_
; %bb.0:
	s_load_dwordx2 s[0:1], s[4:5], 0x0
	v_lshl_or_b32 v2, s6, 10, v0
	v_mov_b32_e32 v3, 0
	s_waitcnt lgkmcnt(0)
	v_cmp_gt_u64_e32 vcc, s[0:1], v[2:3]
	s_and_saveexec_b64 s[2:3], vcc
	s_cbranch_execz .LBB82_8
; %bb.1:
	s_load_dwordx4 s[8:11], s[4:5], 0x8
	v_lshlrev_b64 v[2:3], 3, v[2:3]
	s_waitcnt lgkmcnt(0)
	v_mov_b32_e32 v1, s9
	v_add_co_u32_e32 v4, vcc, s8, v2
	v_addc_co_u32_e32 v5, vcc, v1, v3, vcc
	v_mov_b32_e32 v1, s11
	v_add_co_u32_e32 v2, vcc, s10, v2
	v_addc_co_u32_e32 v3, vcc, v1, v3, vcc
	global_load_dwordx2 v[6:7], v[4:5], off
	global_load_dwordx2 v[8:9], v[2:3], off
                                        ; implicit-def: $vgpr3
	s_waitcnt vmcnt(0)
	v_sub_f32_e32 v1, v6, v8
	v_sub_f32_e32 v4, v7, v9
	v_cmp_gt_f32_e32 vcc, 0, v1
	v_cndmask_b32_e64 v1, v1, -v1, vcc
	v_cmp_gt_f32_e32 vcc, 0, v4
	v_cndmask_b32_e64 v2, v4, -v4, vcc
	v_cmp_ngt_f32_e32 vcc, v1, v2
	s_and_saveexec_b64 s[0:1], vcc
	s_xor_b64 s[6:7], exec, s[0:1]
	s_cbranch_execz .LBB82_5
; %bb.2:
	v_cmp_neq_f32_e32 vcc, 0, v4
	v_mov_b32_e32 v3, 0
	s_and_saveexec_b64 s[8:9], vcc
	s_cbranch_execz .LBB82_4
; %bb.3:
	v_div_scale_f32 v3, s[0:1], v2, v2, v1
	v_rcp_f32_e32 v4, v3
	v_div_scale_f32 v5, vcc, v1, v2, v1
	s_mov_b32 s0, 0xf800000
	v_fma_f32 v6, -v3, v4, 1.0
	v_fmac_f32_e32 v4, v6, v4
	v_mul_f32_e32 v6, v5, v4
	v_fma_f32 v7, -v3, v6, v5
	v_fmac_f32_e32 v6, v7, v4
	v_fma_f32 v3, -v3, v6, v5
	v_div_fmas_f32 v3, v3, v4, v6
	v_div_fixup_f32 v1, v3, v2, v1
	v_fma_f32 v1, v1, v1, 1.0
	v_mul_f32_e32 v3, 0x4f800000, v1
	v_cmp_gt_f32_e32 vcc, s0, v1
	v_cndmask_b32_e32 v1, v1, v3, vcc
	v_sqrt_f32_e32 v3, v1
	v_add_u32_e32 v4, -1, v3
	v_fma_f32 v5, -v4, v3, v1
	v_cmp_ge_f32_e64 s[0:1], 0, v5
	v_add_u32_e32 v5, 1, v3
	v_cndmask_b32_e64 v4, v3, v4, s[0:1]
	v_fma_f32 v3, -v5, v3, v1
	v_cmp_lt_f32_e64 s[0:1], 0, v3
	v_cndmask_b32_e64 v3, v4, v5, s[0:1]
	v_mul_f32_e32 v4, 0x37800000, v3
	v_cndmask_b32_e32 v3, v3, v4, vcc
	v_mov_b32_e32 v4, 0x260
	v_cmp_class_f32_e32 vcc, v1, v4
	v_cndmask_b32_e32 v1, v3, v1, vcc
	v_mul_f32_e32 v3, v2, v1
.LBB82_4:
	s_or_b64 exec, exec, s[8:9]
                                        ; implicit-def: $vgpr1
                                        ; implicit-def: $vgpr2
.LBB82_5:
	s_andn2_saveexec_b64 s[6:7], s[6:7]
	s_cbranch_execz .LBB82_7
; %bb.6:
	v_div_scale_f32 v3, s[0:1], v1, v1, v2
	v_rcp_f32_e32 v4, v3
	v_div_scale_f32 v5, vcc, v2, v1, v2
	s_mov_b32 s0, 0xf800000
	v_fma_f32 v6, -v3, v4, 1.0
	v_fmac_f32_e32 v4, v6, v4
	v_mul_f32_e32 v6, v5, v4
	v_fma_f32 v7, -v3, v6, v5
	v_fmac_f32_e32 v6, v7, v4
	v_fma_f32 v3, -v3, v6, v5
	v_div_fmas_f32 v3, v3, v4, v6
	v_div_fixup_f32 v2, v3, v1, v2
	v_fma_f32 v2, v2, v2, 1.0
	v_mul_f32_e32 v3, 0x4f800000, v2
	v_cmp_gt_f32_e32 vcc, s0, v2
	v_cndmask_b32_e32 v2, v2, v3, vcc
	v_sqrt_f32_e32 v3, v2
	v_add_u32_e32 v4, -1, v3
	v_fma_f32 v5, -v4, v3, v2
	v_cmp_ge_f32_e64 s[0:1], 0, v5
	v_add_u32_e32 v5, 1, v3
	v_cndmask_b32_e64 v4, v3, v4, s[0:1]
	v_fma_f32 v3, -v5, v3, v2
	v_cmp_lt_f32_e64 s[0:1], 0, v3
	v_cndmask_b32_e64 v3, v4, v5, s[0:1]
	v_mul_f32_e32 v4, 0x37800000, v3
	v_cndmask_b32_e32 v3, v3, v4, vcc
	v_mov_b32_e32 v4, 0x260
	v_cmp_class_f32_e32 vcc, v2, v4
	v_cndmask_b32_e32 v2, v3, v2, vcc
	v_mul_f32_e32 v3, v1, v2
.LBB82_7:
	s_or_b64 exec, exec, s[6:7]
.LBB82_8:
	s_or_b64 exec, exec, s[2:3]
	s_movk_i32 s0, 0x200
	v_lshlrev_b32_e32 v1, 2, v0
	v_cmp_gt_u32_e32 vcc, s0, v0
	ds_write_b32 v1, v3
	s_waitcnt lgkmcnt(0)
	s_barrier
	s_and_saveexec_b64 s[0:1], vcc
	s_cbranch_execz .LBB82_10
; %bb.9:
	ds_read2st64_b32 v[2:3], v1 offset1:8
	s_waitcnt lgkmcnt(0)
	v_cmp_lt_f32_e32 vcc, v2, v3
	v_cndmask_b32_e32 v2, v2, v3, vcc
	ds_write_b32 v1, v2
.LBB82_10:
	s_or_b64 exec, exec, s[0:1]
	s_movk_i32 s0, 0x100
	v_cmp_gt_u32_e32 vcc, s0, v0
	s_waitcnt lgkmcnt(0)
	s_barrier
	s_and_saveexec_b64 s[0:1], vcc
	s_cbranch_execz .LBB82_12
; %bb.11:
	ds_read2st64_b32 v[2:3], v1 offset1:4
	s_waitcnt lgkmcnt(0)
	v_cmp_lt_f32_e32 vcc, v2, v3
	v_cndmask_b32_e32 v2, v2, v3, vcc
	ds_write_b32 v1, v2
.LBB82_12:
	s_or_b64 exec, exec, s[0:1]
	s_movk_i32 s0, 0x80
	v_cmp_gt_u32_e32 vcc, s0, v0
	s_waitcnt lgkmcnt(0)
	s_barrier
	s_and_saveexec_b64 s[0:1], vcc
	s_cbranch_execz .LBB82_14
; %bb.13:
	ds_read2st64_b32 v[2:3], v1 offset1:2
	s_waitcnt lgkmcnt(0)
	v_cmp_lt_f32_e32 vcc, v2, v3
	v_cndmask_b32_e32 v2, v2, v3, vcc
	ds_write_b32 v1, v2
.LBB82_14:
	s_or_b64 exec, exec, s[0:1]
	v_cmp_gt_u32_e32 vcc, 64, v0
	s_waitcnt lgkmcnt(0)
	s_barrier
	s_and_saveexec_b64 s[0:1], vcc
	s_cbranch_execz .LBB82_16
; %bb.15:
	ds_read2st64_b32 v[2:3], v1 offset1:1
	s_waitcnt lgkmcnt(0)
	v_cmp_lt_f32_e32 vcc, v2, v3
	v_cndmask_b32_e32 v2, v2, v3, vcc
	ds_write_b32 v1, v2
.LBB82_16:
	s_or_b64 exec, exec, s[0:1]
	v_cmp_gt_u32_e32 vcc, 32, v0
	s_waitcnt lgkmcnt(0)
	s_barrier
	s_and_saveexec_b64 s[0:1], vcc
	s_cbranch_execz .LBB82_18
; %bb.17:
	ds_read2_b32 v[2:3], v1 offset1:32
	s_waitcnt lgkmcnt(0)
	v_cmp_lt_f32_e32 vcc, v2, v3
	v_cndmask_b32_e32 v2, v2, v3, vcc
	ds_write_b32 v1, v2
.LBB82_18:
	s_or_b64 exec, exec, s[0:1]
	v_cmp_gt_u32_e32 vcc, 16, v0
	s_waitcnt lgkmcnt(0)
	s_barrier
	s_and_saveexec_b64 s[0:1], vcc
	s_cbranch_execz .LBB82_20
; %bb.19:
	ds_read2_b32 v[2:3], v1 offset1:16
	s_waitcnt lgkmcnt(0)
	v_cmp_lt_f32_e32 vcc, v2, v3
	v_cndmask_b32_e32 v2, v2, v3, vcc
	ds_write_b32 v1, v2
.LBB82_20:
	;; [unrolled: 13-line block ×5, first 2 shown]
	s_or_b64 exec, exec, s[0:1]
	v_cmp_eq_u32_e32 vcc, 0, v0
	s_waitcnt lgkmcnt(0)
	s_barrier
	s_and_saveexec_b64 s[2:3], vcc
	s_cbranch_execz .LBB82_28
; %bb.27:
	v_mov_b32_e32 v2, 0
	ds_read_b64 v[0:1], v2
	s_waitcnt lgkmcnt(0)
	v_cmp_lt_f32_e64 s[0:1], v0, v1
	v_cndmask_b32_e64 v0, v0, v1, s[0:1]
	ds_write_b32 v2, v0
.LBB82_28:
	s_or_b64 exec, exec, s[2:3]
	s_waitcnt lgkmcnt(0)
	s_barrier
	s_and_saveexec_b64 s[0:1], vcc
	s_cbranch_execz .LBB82_40
; %bb.29:
	s_load_dwordx4 s[4:7], s[4:5], 0x18
	v_mov_b32_e32 v1, 0
	ds_read_b32 v0, v1
	s_mov_b64 s[2:3], 0
	s_waitcnt lgkmcnt(0)
	s_cmp_eq_u64 s[6:7], 0
	s_cbranch_scc1 .LBB82_35
; %bb.30:
	s_load_dword s6, s[6:7], 0x0
	global_load_dword v3, v1, s[4:5] glc
                                        ; implicit-def: $sgpr10_sgpr11
	s_waitcnt lgkmcnt(0)
	v_div_scale_f32 v2, s[0:1], s6, s6, v0
	v_rcp_f32_e32 v4, v2
	v_div_scale_f32 v5, vcc, v0, s6, v0
	s_brev_b32 s0, 1
	v_fma_f32 v6, -v2, v4, 1.0
	v_fmac_f32_e32 v4, v6, v4
	v_mul_f32_e32 v6, v5, v4
	v_fma_f32 v7, -v2, v6, v5
	v_fmac_f32_e32 v6, v7, v4
	v_fma_f32 v2, -v2, v6, v5
	v_div_fmas_f32 v2, v2, v4, v6
	v_div_fixup_f32 v2, v2, s6, v0
	v_cmp_eq_f32_e32 vcc, 0, v2
                                        ; implicit-def: $sgpr6_sgpr7
	s_waitcnt vmcnt(0)
	v_cmp_eq_u32_e64 s[8:9], s0, v3
	s_branch .LBB82_32
.LBB82_31:                              ;   in Loop: Header=BB82_32 Depth=1
	s_or_b64 exec, exec, s[12:13]
	s_and_b64 s[0:1], exec, s[6:7]
	s_or_b64 s[2:3], s[0:1], s[2:3]
	s_andn2_b64 s[0:1], s[8:9], exec
	s_and_b64 s[8:9], s[10:11], exec
	s_or_b64 s[8:9], s[0:1], s[8:9]
	s_andn2_b64 exec, exec, s[2:3]
	s_cbranch_execz .LBB82_34
.LBB82_32:                              ; =>This Inner Loop Header: Depth=1
	v_cmp_lt_f32_e64 s[0:1], v3, v2
	s_and_b64 s[12:13], vcc, s[8:9]
	s_or_b64 s[0:1], s[0:1], s[12:13]
	s_andn2_b64 s[10:11], s[10:11], exec
	s_or_b64 s[6:7], s[6:7], exec
	s_and_saveexec_b64 s[12:13], s[0:1]
	s_cbranch_execz .LBB82_31
; %bb.33:                               ;   in Loop: Header=BB82_32 Depth=1
	global_atomic_cmpswap v4, v1, v[2:3], s[4:5] glc
	s_andn2_b64 s[10:11], s[10:11], exec
	s_andn2_b64 s[6:7], s[6:7], exec
                                        ; implicit-def: $sgpr8_sgpr9
	s_waitcnt vmcnt(0)
	v_cmp_eq_u32_e64 s[0:1], v4, v3
	v_cndmask_b32_e64 v3, v4, v3, s[0:1]
	v_cmp_class_f32_e64 s[14:15], v3, 32
	s_and_b64 s[0:1], s[0:1], exec
	s_and_b64 s[14:15], s[14:15], exec
	s_or_b64 s[6:7], s[6:7], s[0:1]
	s_or_b64 s[10:11], s[10:11], s[14:15]
	v_mov_b32_e32 v3, v4
	s_branch .LBB82_31
.LBB82_34:
	s_or_b64 exec, exec, s[2:3]
	s_branch .LBB82_40
.LBB82_35:
	s_cbranch_execz .LBB82_40
; %bb.36:
	v_mov_b32_e32 v2, 0
	global_load_dword v1, v2, s[4:5] glc
	s_brev_b32 s0, 1
	v_cmp_eq_f32_e32 vcc, 0, v0
	s_mov_b64 s[2:3], 0
                                        ; implicit-def: $sgpr6_sgpr7
                                        ; implicit-def: $sgpr10_sgpr11
	s_waitcnt vmcnt(0)
	v_cmp_eq_u32_e64 s[8:9], s0, v1
	s_branch .LBB82_38
.LBB82_37:                              ;   in Loop: Header=BB82_38 Depth=1
	s_or_b64 exec, exec, s[12:13]
	s_and_b64 s[0:1], exec, s[6:7]
	s_or_b64 s[2:3], s[0:1], s[2:3]
	s_andn2_b64 s[0:1], s[8:9], exec
	s_and_b64 s[8:9], s[10:11], exec
	s_or_b64 s[8:9], s[0:1], s[8:9]
	s_andn2_b64 exec, exec, s[2:3]
	s_cbranch_execz .LBB82_40
.LBB82_38:                              ; =>This Inner Loop Header: Depth=1
	v_cmp_lt_f32_e64 s[0:1], v1, v0
	s_and_b64 s[12:13], vcc, s[8:9]
	s_or_b64 s[0:1], s[0:1], s[12:13]
	s_andn2_b64 s[10:11], s[10:11], exec
	s_or_b64 s[6:7], s[6:7], exec
	s_and_saveexec_b64 s[12:13], s[0:1]
	s_cbranch_execz .LBB82_37
; %bb.39:                               ;   in Loop: Header=BB82_38 Depth=1
	global_atomic_cmpswap v3, v2, v[0:1], s[4:5] glc
	s_andn2_b64 s[10:11], s[10:11], exec
	s_andn2_b64 s[6:7], s[6:7], exec
                                        ; implicit-def: $sgpr8_sgpr9
	s_waitcnt vmcnt(0)
	v_cmp_eq_u32_e64 s[0:1], v3, v1
	v_cndmask_b32_e64 v1, v3, v1, s[0:1]
	v_cmp_class_f32_e64 s[14:15], v1, 32
	s_and_b64 s[0:1], s[0:1], exec
	s_and_b64 s[14:15], s[14:15], exec
	s_or_b64 s[6:7], s[6:7], s[0:1]
	s_or_b64 s[10:11], s[10:11], s[14:15]
	v_mov_b32_e32 v1, v3
	s_branch .LBB82_37
.LBB82_40:
	s_endpgm
	.section	.rodata,"a",@progbits
	.p2align	6, 0x0
	.amdhsa_kernel _ZN9rocsparseL18kernel_nrminf_diffILj1024E21rocsparse_complex_numIfEEEvmPKT0_S5_PNS_15floating_traitsIS3_E6data_tEPKS8_
		.amdhsa_group_segment_fixed_size 4096
		.amdhsa_private_segment_fixed_size 0
		.amdhsa_kernarg_size 40
		.amdhsa_user_sgpr_count 6
		.amdhsa_user_sgpr_private_segment_buffer 1
		.amdhsa_user_sgpr_dispatch_ptr 0
		.amdhsa_user_sgpr_queue_ptr 0
		.amdhsa_user_sgpr_kernarg_segment_ptr 1
		.amdhsa_user_sgpr_dispatch_id 0
		.amdhsa_user_sgpr_flat_scratch_init 0
		.amdhsa_user_sgpr_kernarg_preload_length 0
		.amdhsa_user_sgpr_kernarg_preload_offset 0
		.amdhsa_user_sgpr_private_segment_size 0
		.amdhsa_uses_dynamic_stack 0
		.amdhsa_system_sgpr_private_segment_wavefront_offset 0
		.amdhsa_system_sgpr_workgroup_id_x 1
		.amdhsa_system_sgpr_workgroup_id_y 0
		.amdhsa_system_sgpr_workgroup_id_z 0
		.amdhsa_system_sgpr_workgroup_info 0
		.amdhsa_system_vgpr_workitem_id 0
		.amdhsa_next_free_vgpr 10
		.amdhsa_next_free_sgpr 16
		.amdhsa_accum_offset 12
		.amdhsa_reserve_vcc 1
		.amdhsa_reserve_flat_scratch 0
		.amdhsa_float_round_mode_32 0
		.amdhsa_float_round_mode_16_64 0
		.amdhsa_float_denorm_mode_32 3
		.amdhsa_float_denorm_mode_16_64 3
		.amdhsa_dx10_clamp 1
		.amdhsa_ieee_mode 1
		.amdhsa_fp16_overflow 0
		.amdhsa_tg_split 0
		.amdhsa_exception_fp_ieee_invalid_op 0
		.amdhsa_exception_fp_denorm_src 0
		.amdhsa_exception_fp_ieee_div_zero 0
		.amdhsa_exception_fp_ieee_overflow 0
		.amdhsa_exception_fp_ieee_underflow 0
		.amdhsa_exception_fp_ieee_inexact 0
		.amdhsa_exception_int_div_zero 0
	.end_amdhsa_kernel
	.section	.text._ZN9rocsparseL18kernel_nrminf_diffILj1024E21rocsparse_complex_numIfEEEvmPKT0_S5_PNS_15floating_traitsIS3_E6data_tEPKS8_,"axG",@progbits,_ZN9rocsparseL18kernel_nrminf_diffILj1024E21rocsparse_complex_numIfEEEvmPKT0_S5_PNS_15floating_traitsIS3_E6data_tEPKS8_,comdat
.Lfunc_end82:
	.size	_ZN9rocsparseL18kernel_nrminf_diffILj1024E21rocsparse_complex_numIfEEEvmPKT0_S5_PNS_15floating_traitsIS3_E6data_tEPKS8_, .Lfunc_end82-_ZN9rocsparseL18kernel_nrminf_diffILj1024E21rocsparse_complex_numIfEEEvmPKT0_S5_PNS_15floating_traitsIS3_E6data_tEPKS8_
                                        ; -- End function
	.section	.AMDGPU.csdata,"",@progbits
; Kernel info:
; codeLenInByte = 1620
; NumSgprs: 20
; NumVgprs: 10
; NumAgprs: 0
; TotalNumVgprs: 10
; ScratchSize: 0
; MemoryBound: 0
; FloatMode: 240
; IeeeMode: 1
; LDSByteSize: 4096 bytes/workgroup (compile time only)
; SGPRBlocks: 2
; VGPRBlocks: 1
; NumSGPRsForWavesPerEU: 20
; NumVGPRsForWavesPerEU: 10
; AccumOffset: 12
; Occupancy: 8
; WaveLimiterHint : 0
; COMPUTE_PGM_RSRC2:SCRATCH_EN: 0
; COMPUTE_PGM_RSRC2:USER_SGPR: 6
; COMPUTE_PGM_RSRC2:TRAP_HANDLER: 0
; COMPUTE_PGM_RSRC2:TGID_X_EN: 1
; COMPUTE_PGM_RSRC2:TGID_Y_EN: 0
; COMPUTE_PGM_RSRC2:TGID_Z_EN: 0
; COMPUTE_PGM_RSRC2:TIDIG_COMP_CNT: 0
; COMPUTE_PGM_RSRC3_GFX90A:ACCUM_OFFSET: 2
; COMPUTE_PGM_RSRC3_GFX90A:TG_SPLIT: 0
	.section	.text._ZN9rocsparseL13kernel_nrminfILj1024E21rocsparse_complex_numIfEEEvmPKT0_PNS_15floating_traitsIS3_E6data_tEPKS8_,"axG",@progbits,_ZN9rocsparseL13kernel_nrminfILj1024E21rocsparse_complex_numIfEEEvmPKT0_PNS_15floating_traitsIS3_E6data_tEPKS8_,comdat
	.globl	_ZN9rocsparseL13kernel_nrminfILj1024E21rocsparse_complex_numIfEEEvmPKT0_PNS_15floating_traitsIS3_E6data_tEPKS8_ ; -- Begin function _ZN9rocsparseL13kernel_nrminfILj1024E21rocsparse_complex_numIfEEEvmPKT0_PNS_15floating_traitsIS3_E6data_tEPKS8_
	.p2align	8
	.type	_ZN9rocsparseL13kernel_nrminfILj1024E21rocsparse_complex_numIfEEEvmPKT0_PNS_15floating_traitsIS3_E6data_tEPKS8_,@function
_ZN9rocsparseL13kernel_nrminfILj1024E21rocsparse_complex_numIfEEEvmPKT0_PNS_15floating_traitsIS3_E6data_tEPKS8_: ; @_ZN9rocsparseL13kernel_nrminfILj1024E21rocsparse_complex_numIfEEEvmPKT0_PNS_15floating_traitsIS3_E6data_tEPKS8_
; %bb.0:
	s_load_dwordx2 s[0:1], s[4:5], 0x0
	v_lshl_or_b32 v2, s6, 10, v0
	v_mov_b32_e32 v3, 0
	s_waitcnt lgkmcnt(0)
	v_cmp_gt_u64_e32 vcc, s[0:1], v[2:3]
	s_and_saveexec_b64 s[2:3], vcc
	s_cbranch_execz .LBB83_8
; %bb.1:
	s_load_dwordx2 s[0:1], s[4:5], 0x8
	v_lshlrev_b64 v[2:3], 3, v[2:3]
	s_waitcnt lgkmcnt(0)
	v_mov_b32_e32 v1, s1
	v_add_co_u32_e32 v2, vcc, s0, v2
	v_addc_co_u32_e32 v3, vcc, v1, v3, vcc
	global_load_dwordx2 v[4:5], v[2:3], off
                                        ; implicit-def: $vgpr3
	s_waitcnt vmcnt(0)
	v_cmp_gt_f32_e32 vcc, 0, v4
	v_cndmask_b32_e64 v1, v4, -v4, vcc
	v_cmp_gt_f32_e32 vcc, 0, v5
	v_cndmask_b32_e64 v2, v5, -v5, vcc
	v_cmp_ngt_f32_e32 vcc, v1, v2
	s_and_saveexec_b64 s[0:1], vcc
	s_xor_b64 s[6:7], exec, s[0:1]
	s_cbranch_execz .LBB83_5
; %bb.2:
	v_cmp_neq_f32_e32 vcc, 0, v5
	v_mov_b32_e32 v3, 0
	s_and_saveexec_b64 s[8:9], vcc
	s_cbranch_execz .LBB83_4
; %bb.3:
	v_div_scale_f32 v3, s[0:1], v2, v2, v1
	v_rcp_f32_e32 v4, v3
	v_div_scale_f32 v5, vcc, v1, v2, v1
	s_mov_b32 s0, 0xf800000
	v_fma_f32 v6, -v3, v4, 1.0
	v_fmac_f32_e32 v4, v6, v4
	v_mul_f32_e32 v6, v5, v4
	v_fma_f32 v7, -v3, v6, v5
	v_fmac_f32_e32 v6, v7, v4
	v_fma_f32 v3, -v3, v6, v5
	v_div_fmas_f32 v3, v3, v4, v6
	v_div_fixup_f32 v1, v3, v2, v1
	v_fma_f32 v1, v1, v1, 1.0
	v_mul_f32_e32 v3, 0x4f800000, v1
	v_cmp_gt_f32_e32 vcc, s0, v1
	v_cndmask_b32_e32 v1, v1, v3, vcc
	v_sqrt_f32_e32 v3, v1
	v_add_u32_e32 v4, -1, v3
	v_fma_f32 v5, -v4, v3, v1
	v_cmp_ge_f32_e64 s[0:1], 0, v5
	v_add_u32_e32 v5, 1, v3
	v_cndmask_b32_e64 v4, v3, v4, s[0:1]
	v_fma_f32 v3, -v5, v3, v1
	v_cmp_lt_f32_e64 s[0:1], 0, v3
	v_cndmask_b32_e64 v3, v4, v5, s[0:1]
	v_mul_f32_e32 v4, 0x37800000, v3
	v_cndmask_b32_e32 v3, v3, v4, vcc
	v_mov_b32_e32 v4, 0x260
	v_cmp_class_f32_e32 vcc, v1, v4
	v_cndmask_b32_e32 v1, v3, v1, vcc
	v_mul_f32_e32 v3, v2, v1
.LBB83_4:
	s_or_b64 exec, exec, s[8:9]
                                        ; implicit-def: $vgpr1
                                        ; implicit-def: $vgpr2
.LBB83_5:
	s_andn2_saveexec_b64 s[6:7], s[6:7]
	s_cbranch_execz .LBB83_7
; %bb.6:
	v_div_scale_f32 v3, s[0:1], v1, v1, v2
	v_rcp_f32_e32 v4, v3
	v_div_scale_f32 v5, vcc, v2, v1, v2
	s_mov_b32 s0, 0xf800000
	v_fma_f32 v6, -v3, v4, 1.0
	v_fmac_f32_e32 v4, v6, v4
	v_mul_f32_e32 v6, v5, v4
	v_fma_f32 v7, -v3, v6, v5
	v_fmac_f32_e32 v6, v7, v4
	v_fma_f32 v3, -v3, v6, v5
	v_div_fmas_f32 v3, v3, v4, v6
	v_div_fixup_f32 v2, v3, v1, v2
	v_fma_f32 v2, v2, v2, 1.0
	v_mul_f32_e32 v3, 0x4f800000, v2
	v_cmp_gt_f32_e32 vcc, s0, v2
	v_cndmask_b32_e32 v2, v2, v3, vcc
	v_sqrt_f32_e32 v3, v2
	v_add_u32_e32 v4, -1, v3
	v_fma_f32 v5, -v4, v3, v2
	v_cmp_ge_f32_e64 s[0:1], 0, v5
	v_add_u32_e32 v5, 1, v3
	v_cndmask_b32_e64 v4, v3, v4, s[0:1]
	v_fma_f32 v3, -v5, v3, v2
	v_cmp_lt_f32_e64 s[0:1], 0, v3
	v_cndmask_b32_e64 v3, v4, v5, s[0:1]
	v_mul_f32_e32 v4, 0x37800000, v3
	v_cndmask_b32_e32 v3, v3, v4, vcc
	v_mov_b32_e32 v4, 0x260
	v_cmp_class_f32_e32 vcc, v2, v4
	v_cndmask_b32_e32 v2, v3, v2, vcc
	v_mul_f32_e32 v3, v1, v2
.LBB83_7:
	s_or_b64 exec, exec, s[6:7]
.LBB83_8:
	s_or_b64 exec, exec, s[2:3]
	s_movk_i32 s0, 0x200
	v_lshlrev_b32_e32 v1, 2, v0
	v_cmp_gt_u32_e32 vcc, s0, v0
	ds_write_b32 v1, v3
	s_waitcnt lgkmcnt(0)
	s_barrier
	s_and_saveexec_b64 s[0:1], vcc
	s_cbranch_execz .LBB83_10
; %bb.9:
	ds_read2st64_b32 v[2:3], v1 offset1:8
	s_waitcnt lgkmcnt(0)
	v_cmp_lt_f32_e32 vcc, v2, v3
	v_cndmask_b32_e32 v2, v2, v3, vcc
	ds_write_b32 v1, v2
.LBB83_10:
	s_or_b64 exec, exec, s[0:1]
	s_movk_i32 s0, 0x100
	v_cmp_gt_u32_e32 vcc, s0, v0
	s_waitcnt lgkmcnt(0)
	s_barrier
	s_and_saveexec_b64 s[0:1], vcc
	s_cbranch_execz .LBB83_12
; %bb.11:
	ds_read2st64_b32 v[2:3], v1 offset1:4
	s_waitcnt lgkmcnt(0)
	v_cmp_lt_f32_e32 vcc, v2, v3
	v_cndmask_b32_e32 v2, v2, v3, vcc
	ds_write_b32 v1, v2
.LBB83_12:
	s_or_b64 exec, exec, s[0:1]
	s_movk_i32 s0, 0x80
	v_cmp_gt_u32_e32 vcc, s0, v0
	s_waitcnt lgkmcnt(0)
	s_barrier
	s_and_saveexec_b64 s[0:1], vcc
	s_cbranch_execz .LBB83_14
; %bb.13:
	ds_read2st64_b32 v[2:3], v1 offset1:2
	s_waitcnt lgkmcnt(0)
	v_cmp_lt_f32_e32 vcc, v2, v3
	v_cndmask_b32_e32 v2, v2, v3, vcc
	ds_write_b32 v1, v2
.LBB83_14:
	s_or_b64 exec, exec, s[0:1]
	v_cmp_gt_u32_e32 vcc, 64, v0
	s_waitcnt lgkmcnt(0)
	s_barrier
	s_and_saveexec_b64 s[0:1], vcc
	s_cbranch_execz .LBB83_16
; %bb.15:
	ds_read2st64_b32 v[2:3], v1 offset1:1
	s_waitcnt lgkmcnt(0)
	v_cmp_lt_f32_e32 vcc, v2, v3
	v_cndmask_b32_e32 v2, v2, v3, vcc
	ds_write_b32 v1, v2
.LBB83_16:
	s_or_b64 exec, exec, s[0:1]
	v_cmp_gt_u32_e32 vcc, 32, v0
	s_waitcnt lgkmcnt(0)
	s_barrier
	s_and_saveexec_b64 s[0:1], vcc
	s_cbranch_execz .LBB83_18
; %bb.17:
	ds_read2_b32 v[2:3], v1 offset1:32
	s_waitcnt lgkmcnt(0)
	v_cmp_lt_f32_e32 vcc, v2, v3
	v_cndmask_b32_e32 v2, v2, v3, vcc
	ds_write_b32 v1, v2
.LBB83_18:
	s_or_b64 exec, exec, s[0:1]
	v_cmp_gt_u32_e32 vcc, 16, v0
	s_waitcnt lgkmcnt(0)
	s_barrier
	s_and_saveexec_b64 s[0:1], vcc
	s_cbranch_execz .LBB83_20
; %bb.19:
	ds_read2_b32 v[2:3], v1 offset1:16
	s_waitcnt lgkmcnt(0)
	v_cmp_lt_f32_e32 vcc, v2, v3
	v_cndmask_b32_e32 v2, v2, v3, vcc
	ds_write_b32 v1, v2
.LBB83_20:
	;; [unrolled: 13-line block ×5, first 2 shown]
	s_or_b64 exec, exec, s[0:1]
	v_cmp_eq_u32_e32 vcc, 0, v0
	s_waitcnt lgkmcnt(0)
	s_barrier
	s_and_saveexec_b64 s[2:3], vcc
	s_cbranch_execz .LBB83_28
; %bb.27:
	v_mov_b32_e32 v2, 0
	ds_read_b64 v[0:1], v2
	s_waitcnt lgkmcnt(0)
	v_cmp_lt_f32_e64 s[0:1], v0, v1
	v_cndmask_b32_e64 v0, v0, v1, s[0:1]
	ds_write_b32 v2, v0
.LBB83_28:
	s_or_b64 exec, exec, s[2:3]
	s_waitcnt lgkmcnt(0)
	s_barrier
	s_and_saveexec_b64 s[0:1], vcc
	s_cbranch_execz .LBB83_40
; %bb.29:
	s_load_dwordx4 s[4:7], s[4:5], 0x10
	v_mov_b32_e32 v1, 0
	ds_read_b32 v0, v1
	s_mov_b64 s[2:3], 0
	s_waitcnt lgkmcnt(0)
	s_cmp_eq_u64 s[6:7], 0
	s_cbranch_scc1 .LBB83_35
; %bb.30:
	s_load_dword s6, s[6:7], 0x0
	global_load_dword v3, v1, s[4:5] glc
                                        ; implicit-def: $sgpr10_sgpr11
	s_waitcnt lgkmcnt(0)
	v_div_scale_f32 v2, s[0:1], s6, s6, v0
	v_rcp_f32_e32 v4, v2
	v_div_scale_f32 v5, vcc, v0, s6, v0
	s_brev_b32 s0, 1
	v_fma_f32 v6, -v2, v4, 1.0
	v_fmac_f32_e32 v4, v6, v4
	v_mul_f32_e32 v6, v5, v4
	v_fma_f32 v7, -v2, v6, v5
	v_fmac_f32_e32 v6, v7, v4
	v_fma_f32 v2, -v2, v6, v5
	v_div_fmas_f32 v2, v2, v4, v6
	v_div_fixup_f32 v2, v2, s6, v0
	v_cmp_eq_f32_e32 vcc, 0, v2
                                        ; implicit-def: $sgpr6_sgpr7
	s_waitcnt vmcnt(0)
	v_cmp_eq_u32_e64 s[8:9], s0, v3
	s_branch .LBB83_32
.LBB83_31:                              ;   in Loop: Header=BB83_32 Depth=1
	s_or_b64 exec, exec, s[12:13]
	s_and_b64 s[0:1], exec, s[6:7]
	s_or_b64 s[2:3], s[0:1], s[2:3]
	s_andn2_b64 s[0:1], s[8:9], exec
	s_and_b64 s[8:9], s[10:11], exec
	s_or_b64 s[8:9], s[0:1], s[8:9]
	s_andn2_b64 exec, exec, s[2:3]
	s_cbranch_execz .LBB83_34
.LBB83_32:                              ; =>This Inner Loop Header: Depth=1
	v_cmp_lt_f32_e64 s[0:1], v3, v2
	s_and_b64 s[12:13], vcc, s[8:9]
	s_or_b64 s[0:1], s[0:1], s[12:13]
	s_andn2_b64 s[10:11], s[10:11], exec
	s_or_b64 s[6:7], s[6:7], exec
	s_and_saveexec_b64 s[12:13], s[0:1]
	s_cbranch_execz .LBB83_31
; %bb.33:                               ;   in Loop: Header=BB83_32 Depth=1
	global_atomic_cmpswap v4, v1, v[2:3], s[4:5] glc
	s_andn2_b64 s[10:11], s[10:11], exec
	s_andn2_b64 s[6:7], s[6:7], exec
                                        ; implicit-def: $sgpr8_sgpr9
	s_waitcnt vmcnt(0)
	v_cmp_eq_u32_e64 s[0:1], v4, v3
	v_cndmask_b32_e64 v3, v4, v3, s[0:1]
	v_cmp_class_f32_e64 s[14:15], v3, 32
	s_and_b64 s[0:1], s[0:1], exec
	s_and_b64 s[14:15], s[14:15], exec
	s_or_b64 s[6:7], s[6:7], s[0:1]
	s_or_b64 s[10:11], s[10:11], s[14:15]
	v_mov_b32_e32 v3, v4
	s_branch .LBB83_31
.LBB83_34:
	s_or_b64 exec, exec, s[2:3]
	s_branch .LBB83_40
.LBB83_35:
	s_cbranch_execz .LBB83_40
; %bb.36:
	v_mov_b32_e32 v2, 0
	global_load_dword v1, v2, s[4:5] glc
	s_brev_b32 s0, 1
	v_cmp_eq_f32_e32 vcc, 0, v0
	s_mov_b64 s[2:3], 0
                                        ; implicit-def: $sgpr6_sgpr7
                                        ; implicit-def: $sgpr10_sgpr11
	s_waitcnt vmcnt(0)
	v_cmp_eq_u32_e64 s[8:9], s0, v1
	s_branch .LBB83_38
.LBB83_37:                              ;   in Loop: Header=BB83_38 Depth=1
	s_or_b64 exec, exec, s[12:13]
	s_and_b64 s[0:1], exec, s[6:7]
	s_or_b64 s[2:3], s[0:1], s[2:3]
	s_andn2_b64 s[0:1], s[8:9], exec
	s_and_b64 s[8:9], s[10:11], exec
	s_or_b64 s[8:9], s[0:1], s[8:9]
	s_andn2_b64 exec, exec, s[2:3]
	s_cbranch_execz .LBB83_40
.LBB83_38:                              ; =>This Inner Loop Header: Depth=1
	v_cmp_lt_f32_e64 s[0:1], v1, v0
	s_and_b64 s[12:13], vcc, s[8:9]
	s_or_b64 s[0:1], s[0:1], s[12:13]
	s_andn2_b64 s[10:11], s[10:11], exec
	s_or_b64 s[6:7], s[6:7], exec
	s_and_saveexec_b64 s[12:13], s[0:1]
	s_cbranch_execz .LBB83_37
; %bb.39:                               ;   in Loop: Header=BB83_38 Depth=1
	global_atomic_cmpswap v3, v2, v[0:1], s[4:5] glc
	s_andn2_b64 s[10:11], s[10:11], exec
	s_andn2_b64 s[6:7], s[6:7], exec
                                        ; implicit-def: $sgpr8_sgpr9
	s_waitcnt vmcnt(0)
	v_cmp_eq_u32_e64 s[0:1], v3, v1
	v_cndmask_b32_e64 v1, v3, v1, s[0:1]
	v_cmp_class_f32_e64 s[14:15], v1, 32
	s_and_b64 s[0:1], s[0:1], exec
	s_and_b64 s[14:15], s[14:15], exec
	s_or_b64 s[6:7], s[6:7], s[0:1]
	s_or_b64 s[10:11], s[10:11], s[14:15]
	v_mov_b32_e32 v1, v3
	s_branch .LBB83_37
.LBB83_40:
	s_endpgm
	.section	.rodata,"a",@progbits
	.p2align	6, 0x0
	.amdhsa_kernel _ZN9rocsparseL13kernel_nrminfILj1024E21rocsparse_complex_numIfEEEvmPKT0_PNS_15floating_traitsIS3_E6data_tEPKS8_
		.amdhsa_group_segment_fixed_size 4096
		.amdhsa_private_segment_fixed_size 0
		.amdhsa_kernarg_size 32
		.amdhsa_user_sgpr_count 6
		.amdhsa_user_sgpr_private_segment_buffer 1
		.amdhsa_user_sgpr_dispatch_ptr 0
		.amdhsa_user_sgpr_queue_ptr 0
		.amdhsa_user_sgpr_kernarg_segment_ptr 1
		.amdhsa_user_sgpr_dispatch_id 0
		.amdhsa_user_sgpr_flat_scratch_init 0
		.amdhsa_user_sgpr_kernarg_preload_length 0
		.amdhsa_user_sgpr_kernarg_preload_offset 0
		.amdhsa_user_sgpr_private_segment_size 0
		.amdhsa_uses_dynamic_stack 0
		.amdhsa_system_sgpr_private_segment_wavefront_offset 0
		.amdhsa_system_sgpr_workgroup_id_x 1
		.amdhsa_system_sgpr_workgroup_id_y 0
		.amdhsa_system_sgpr_workgroup_id_z 0
		.amdhsa_system_sgpr_workgroup_info 0
		.amdhsa_system_vgpr_workitem_id 0
		.amdhsa_next_free_vgpr 8
		.amdhsa_next_free_sgpr 16
		.amdhsa_accum_offset 8
		.amdhsa_reserve_vcc 1
		.amdhsa_reserve_flat_scratch 0
		.amdhsa_float_round_mode_32 0
		.amdhsa_float_round_mode_16_64 0
		.amdhsa_float_denorm_mode_32 3
		.amdhsa_float_denorm_mode_16_64 3
		.amdhsa_dx10_clamp 1
		.amdhsa_ieee_mode 1
		.amdhsa_fp16_overflow 0
		.amdhsa_tg_split 0
		.amdhsa_exception_fp_ieee_invalid_op 0
		.amdhsa_exception_fp_denorm_src 0
		.amdhsa_exception_fp_ieee_div_zero 0
		.amdhsa_exception_fp_ieee_overflow 0
		.amdhsa_exception_fp_ieee_underflow 0
		.amdhsa_exception_fp_ieee_inexact 0
		.amdhsa_exception_int_div_zero 0
	.end_amdhsa_kernel
	.section	.text._ZN9rocsparseL13kernel_nrminfILj1024E21rocsparse_complex_numIfEEEvmPKT0_PNS_15floating_traitsIS3_E6data_tEPKS8_,"axG",@progbits,_ZN9rocsparseL13kernel_nrminfILj1024E21rocsparse_complex_numIfEEEvmPKT0_PNS_15floating_traitsIS3_E6data_tEPKS8_,comdat
.Lfunc_end83:
	.size	_ZN9rocsparseL13kernel_nrminfILj1024E21rocsparse_complex_numIfEEEvmPKT0_PNS_15floating_traitsIS3_E6data_tEPKS8_, .Lfunc_end83-_ZN9rocsparseL13kernel_nrminfILj1024E21rocsparse_complex_numIfEEEvmPKT0_PNS_15floating_traitsIS3_E6data_tEPKS8_
                                        ; -- End function
	.section	.AMDGPU.csdata,"",@progbits
; Kernel info:
; codeLenInByte = 1592
; NumSgprs: 20
; NumVgprs: 8
; NumAgprs: 0
; TotalNumVgprs: 8
; ScratchSize: 0
; MemoryBound: 0
; FloatMode: 240
; IeeeMode: 1
; LDSByteSize: 4096 bytes/workgroup (compile time only)
; SGPRBlocks: 2
; VGPRBlocks: 0
; NumSGPRsForWavesPerEU: 20
; NumVGPRsForWavesPerEU: 8
; AccumOffset: 8
; Occupancy: 8
; WaveLimiterHint : 0
; COMPUTE_PGM_RSRC2:SCRATCH_EN: 0
; COMPUTE_PGM_RSRC2:USER_SGPR: 6
; COMPUTE_PGM_RSRC2:TRAP_HANDLER: 0
; COMPUTE_PGM_RSRC2:TGID_X_EN: 1
; COMPUTE_PGM_RSRC2:TGID_Y_EN: 0
; COMPUTE_PGM_RSRC2:TGID_Z_EN: 0
; COMPUTE_PGM_RSRC2:TIDIG_COMP_CNT: 0
; COMPUTE_PGM_RSRC3_GFX90A:ACCUM_OFFSET: 1
; COMPUTE_PGM_RSRC3_GFX90A:TG_SPLIT: 0
	.section	.text._ZN9rocsparseL18kernel_nrminf_diffILj1024E21rocsparse_complex_numIdEEEvmPKT0_S5_PNS_15floating_traitsIS3_E6data_tEPKS8_,"axG",@progbits,_ZN9rocsparseL18kernel_nrminf_diffILj1024E21rocsparse_complex_numIdEEEvmPKT0_S5_PNS_15floating_traitsIS3_E6data_tEPKS8_,comdat
	.globl	_ZN9rocsparseL18kernel_nrminf_diffILj1024E21rocsparse_complex_numIdEEEvmPKT0_S5_PNS_15floating_traitsIS3_E6data_tEPKS8_ ; -- Begin function _ZN9rocsparseL18kernel_nrminf_diffILj1024E21rocsparse_complex_numIdEEEvmPKT0_S5_PNS_15floating_traitsIS3_E6data_tEPKS8_
	.p2align	8
	.type	_ZN9rocsparseL18kernel_nrminf_diffILj1024E21rocsparse_complex_numIdEEEvmPKT0_S5_PNS_15floating_traitsIS3_E6data_tEPKS8_,@function
_ZN9rocsparseL18kernel_nrminf_diffILj1024E21rocsparse_complex_numIdEEEvmPKT0_S5_PNS_15floating_traitsIS3_E6data_tEPKS8_: ; @_ZN9rocsparseL18kernel_nrminf_diffILj1024E21rocsparse_complex_numIdEEEvmPKT0_S5_PNS_15floating_traitsIS3_E6data_tEPKS8_
; %bb.0:
	s_load_dwordx2 s[0:1], s[4:5], 0x0
	v_mov_b32_e32 v3, 0
	v_lshl_or_b32 v2, s6, 10, v0
	v_pk_mov_b32 v[6:7], 0, 0
	s_waitcnt lgkmcnt(0)
	v_cmp_gt_u64_e32 vcc, s[0:1], v[2:3]
	s_and_saveexec_b64 s[0:1], vcc
	s_cbranch_execz .LBB84_8
; %bb.1:
	s_load_dwordx4 s[8:11], s[4:5], 0x8
	v_lshlrev_b64 v[2:3], 4, v[2:3]
	s_waitcnt lgkmcnt(0)
	v_mov_b32_e32 v1, s9
	v_add_co_u32_e32 v10, vcc, s8, v2
	v_addc_co_u32_e32 v11, vcc, v1, v3, vcc
	v_mov_b32_e32 v1, s11
	v_add_co_u32_e32 v12, vcc, s10, v2
	v_addc_co_u32_e32 v13, vcc, v1, v3, vcc
	global_load_dwordx4 v[2:5], v[12:13], off
	global_load_dwordx4 v[6:9], v[10:11], off
	s_waitcnt vmcnt(0)
	v_add_f64 v[2:3], v[6:7], -v[2:3]
	v_add_f64 v[8:9], v[8:9], -v[4:5]
	v_xor_b32_e32 v1, 0x80000000, v3
	v_cmp_gt_f64_e32 vcc, 0, v[2:3]
	v_xor_b32_e32 v4, 0x80000000, v9
	v_cndmask_b32_e32 v3, v3, v1, vcc
	v_cndmask_b32_e32 v2, v2, v2, vcc
	v_cmp_gt_f64_e32 vcc, 0, v[8:9]
	v_cndmask_b32_e32 v5, v9, v4, vcc
	v_cndmask_b32_e32 v4, v8, v8, vcc
	v_cmp_ngt_f64_e32 vcc, v[2:3], v[4:5]
                                        ; implicit-def: $vgpr6_vgpr7
	s_and_saveexec_b64 s[2:3], vcc
	s_xor_b64 s[2:3], exec, s[2:3]
	s_cbranch_execz .LBB84_5
; %bb.2:
	v_cmp_neq_f64_e32 vcc, 0, v[8:9]
	v_pk_mov_b32 v[6:7], 0, 0
	s_and_saveexec_b64 s[6:7], vcc
	s_cbranch_execz .LBB84_4
; %bb.3:
	v_div_scale_f64 v[6:7], s[8:9], v[4:5], v[4:5], v[2:3]
	v_rcp_f64_e32 v[8:9], v[6:7]
	v_div_scale_f64 v[10:11], vcc, v[2:3], v[4:5], v[2:3]
	s_mov_b32 s8, 0
	v_fma_f64 v[12:13], -v[6:7], v[8:9], 1.0
	v_fmac_f64_e32 v[8:9], v[8:9], v[12:13]
	v_fma_f64 v[12:13], -v[6:7], v[8:9], 1.0
	v_fmac_f64_e32 v[8:9], v[8:9], v[12:13]
	v_mul_f64 v[12:13], v[10:11], v[8:9]
	v_fma_f64 v[6:7], -v[6:7], v[12:13], v[10:11]
	v_div_fmas_f64 v[6:7], v[6:7], v[8:9], v[12:13]
	v_div_fixup_f64 v[2:3], v[6:7], v[4:5], v[2:3]
	v_fma_f64 v[2:3], v[2:3], v[2:3], 1.0
	s_brev_b32 s9, 8
	v_cmp_gt_f64_e32 vcc, s[8:9], v[2:3]
	v_cndmask_b32_e64 v1, 0, 1, vcc
	v_lshlrev_b32_e32 v1, 8, v1
	v_ldexp_f64 v[2:3], v[2:3], v1
	v_rsq_f64_e32 v[6:7], v[2:3]
	v_mov_b32_e32 v1, 0xffffff80
	v_cndmask_b32_e32 v1, 0, v1, vcc
	v_mul_f64 v[8:9], v[2:3], v[6:7]
	v_mul_f64 v[6:7], v[6:7], 0.5
	v_fma_f64 v[10:11], -v[6:7], v[8:9], 0.5
	v_fmac_f64_e32 v[8:9], v[8:9], v[10:11]
	v_fma_f64 v[12:13], -v[8:9], v[8:9], v[2:3]
	v_fmac_f64_e32 v[6:7], v[6:7], v[10:11]
	v_fmac_f64_e32 v[8:9], v[12:13], v[6:7]
	v_fma_f64 v[10:11], -v[8:9], v[8:9], v[2:3]
	v_fmac_f64_e32 v[8:9], v[10:11], v[6:7]
	v_ldexp_f64 v[6:7], v[8:9], v1
	v_mov_b32_e32 v1, 0x260
	v_cmp_class_f64_e32 vcc, v[2:3], v1
	v_cndmask_b32_e32 v3, v7, v3, vcc
	v_cndmask_b32_e32 v2, v6, v2, vcc
	v_mul_f64 v[6:7], v[4:5], v[2:3]
.LBB84_4:
	s_or_b64 exec, exec, s[6:7]
                                        ; implicit-def: $vgpr2_vgpr3
                                        ; implicit-def: $vgpr4_vgpr5
.LBB84_5:
	s_andn2_saveexec_b64 s[2:3], s[2:3]
	s_cbranch_execz .LBB84_7
; %bb.6:
	v_div_scale_f64 v[6:7], s[6:7], v[2:3], v[2:3], v[4:5]
	v_rcp_f64_e32 v[8:9], v[6:7]
	v_div_scale_f64 v[10:11], vcc, v[4:5], v[2:3], v[4:5]
	s_mov_b32 s6, 0
	v_fma_f64 v[12:13], -v[6:7], v[8:9], 1.0
	v_fmac_f64_e32 v[8:9], v[8:9], v[12:13]
	v_fma_f64 v[12:13], -v[6:7], v[8:9], 1.0
	v_fmac_f64_e32 v[8:9], v[8:9], v[12:13]
	v_mul_f64 v[12:13], v[10:11], v[8:9]
	v_fma_f64 v[6:7], -v[6:7], v[12:13], v[10:11]
	v_div_fmas_f64 v[6:7], v[6:7], v[8:9], v[12:13]
	v_div_fixup_f64 v[4:5], v[6:7], v[2:3], v[4:5]
	v_fma_f64 v[4:5], v[4:5], v[4:5], 1.0
	s_brev_b32 s7, 8
	v_cmp_gt_f64_e32 vcc, s[6:7], v[4:5]
	v_cndmask_b32_e64 v1, 0, 1, vcc
	v_lshlrev_b32_e32 v1, 8, v1
	v_ldexp_f64 v[4:5], v[4:5], v1
	v_rsq_f64_e32 v[6:7], v[4:5]
	v_mov_b32_e32 v1, 0xffffff80
	v_cndmask_b32_e32 v1, 0, v1, vcc
	v_mul_f64 v[8:9], v[4:5], v[6:7]
	v_mul_f64 v[6:7], v[6:7], 0.5
	v_fma_f64 v[10:11], -v[6:7], v[8:9], 0.5
	v_fmac_f64_e32 v[8:9], v[8:9], v[10:11]
	v_fma_f64 v[12:13], -v[8:9], v[8:9], v[4:5]
	v_fmac_f64_e32 v[6:7], v[6:7], v[10:11]
	v_fmac_f64_e32 v[8:9], v[12:13], v[6:7]
	v_fma_f64 v[10:11], -v[8:9], v[8:9], v[4:5]
	v_fmac_f64_e32 v[8:9], v[10:11], v[6:7]
	v_ldexp_f64 v[6:7], v[8:9], v1
	v_mov_b32_e32 v1, 0x260
	v_cmp_class_f64_e32 vcc, v[4:5], v1
	v_cndmask_b32_e32 v5, v7, v5, vcc
	v_cndmask_b32_e32 v4, v6, v4, vcc
	v_mul_f64 v[6:7], v[2:3], v[4:5]
.LBB84_7:
	s_or_b64 exec, exec, s[2:3]
.LBB84_8:
	s_or_b64 exec, exec, s[0:1]
	s_movk_i32 s0, 0x200
	v_lshlrev_b32_e32 v1, 3, v0
	v_cmp_gt_u32_e32 vcc, s0, v0
	ds_write_b64 v1, v[6:7]
	s_waitcnt lgkmcnt(0)
	s_barrier
	s_and_saveexec_b64 s[0:1], vcc
	s_cbranch_execz .LBB84_10
; %bb.9:
	ds_read2st64_b64 v[2:5], v1 offset1:8
	s_waitcnt lgkmcnt(0)
	v_cmp_lt_f64_e32 vcc, v[2:3], v[4:5]
	v_cndmask_b32_e32 v3, v3, v5, vcc
	v_cndmask_b32_e32 v2, v2, v4, vcc
	ds_write_b64 v1, v[2:3]
.LBB84_10:
	s_or_b64 exec, exec, s[0:1]
	s_movk_i32 s0, 0x100
	v_cmp_gt_u32_e32 vcc, s0, v0
	s_waitcnt lgkmcnt(0)
	s_barrier
	s_and_saveexec_b64 s[0:1], vcc
	s_cbranch_execz .LBB84_12
; %bb.11:
	ds_read2st64_b64 v[2:5], v1 offset1:4
	s_waitcnt lgkmcnt(0)
	v_cmp_lt_f64_e32 vcc, v[2:3], v[4:5]
	v_cndmask_b32_e32 v3, v3, v5, vcc
	v_cndmask_b32_e32 v2, v2, v4, vcc
	ds_write_b64 v1, v[2:3]
.LBB84_12:
	s_or_b64 exec, exec, s[0:1]
	s_movk_i32 s0, 0x80
	v_cmp_gt_u32_e32 vcc, s0, v0
	s_waitcnt lgkmcnt(0)
	s_barrier
	s_and_saveexec_b64 s[0:1], vcc
	s_cbranch_execz .LBB84_14
; %bb.13:
	ds_read2st64_b64 v[2:5], v1 offset1:2
	s_waitcnt lgkmcnt(0)
	v_cmp_lt_f64_e32 vcc, v[2:3], v[4:5]
	v_cndmask_b32_e32 v3, v3, v5, vcc
	v_cndmask_b32_e32 v2, v2, v4, vcc
	ds_write_b64 v1, v[2:3]
.LBB84_14:
	s_or_b64 exec, exec, s[0:1]
	v_cmp_gt_u32_e32 vcc, 64, v0
	s_waitcnt lgkmcnt(0)
	s_barrier
	s_and_saveexec_b64 s[0:1], vcc
	s_cbranch_execz .LBB84_16
; %bb.15:
	ds_read2st64_b64 v[2:5], v1 offset1:1
	s_waitcnt lgkmcnt(0)
	v_cmp_lt_f64_e32 vcc, v[2:3], v[4:5]
	v_cndmask_b32_e32 v3, v3, v5, vcc
	v_cndmask_b32_e32 v2, v2, v4, vcc
	ds_write_b64 v1, v[2:3]
.LBB84_16:
	s_or_b64 exec, exec, s[0:1]
	v_cmp_gt_u32_e32 vcc, 32, v0
	s_waitcnt lgkmcnt(0)
	s_barrier
	s_and_saveexec_b64 s[0:1], vcc
	s_cbranch_execz .LBB84_18
; %bb.17:
	ds_read2_b64 v[2:5], v1 offset1:32
	s_waitcnt lgkmcnt(0)
	v_cmp_lt_f64_e32 vcc, v[2:3], v[4:5]
	v_cndmask_b32_e32 v3, v3, v5, vcc
	v_cndmask_b32_e32 v2, v2, v4, vcc
	ds_write_b64 v1, v[2:3]
.LBB84_18:
	s_or_b64 exec, exec, s[0:1]
	v_cmp_gt_u32_e32 vcc, 16, v0
	s_waitcnt lgkmcnt(0)
	s_barrier
	s_and_saveexec_b64 s[0:1], vcc
	s_cbranch_execz .LBB84_20
; %bb.19:
	ds_read2_b64 v[2:5], v1 offset1:16
	s_waitcnt lgkmcnt(0)
	v_cmp_lt_f64_e32 vcc, v[2:3], v[4:5]
	v_cndmask_b32_e32 v3, v3, v5, vcc
	v_cndmask_b32_e32 v2, v2, v4, vcc
	ds_write_b64 v1, v[2:3]
.LBB84_20:
	;; [unrolled: 14-line block ×5, first 2 shown]
	s_or_b64 exec, exec, s[0:1]
	v_cmp_eq_u32_e32 vcc, 0, v0
	s_waitcnt lgkmcnt(0)
	s_barrier
	s_and_saveexec_b64 s[2:3], vcc
	s_cbranch_execz .LBB84_28
; %bb.27:
	v_mov_b32_e32 v4, 0
	ds_read_b128 v[0:3], v4
	s_waitcnt lgkmcnt(0)
	v_cmp_lt_f64_e64 s[0:1], v[0:1], v[2:3]
	v_cndmask_b32_e64 v1, v1, v3, s[0:1]
	v_cndmask_b32_e64 v0, v0, v2, s[0:1]
	ds_write_b64 v4, v[0:1]
.LBB84_28:
	s_or_b64 exec, exec, s[2:3]
	s_waitcnt lgkmcnt(0)
	s_barrier
	s_and_saveexec_b64 s[0:1], vcc
	s_cbranch_execz .LBB84_40
; %bb.29:
	s_load_dwordx4 s[4:7], s[4:5], 0x18
	v_mov_b32_e32 v6, 0
	ds_read_b64 v[0:1], v6
	s_mov_b64 s[2:3], 0
	s_waitcnt lgkmcnt(0)
	s_cmp_eq_u64 s[6:7], 0
	s_cbranch_scc1 .LBB84_35
; %bb.30:
	s_load_dwordx2 s[0:1], s[6:7], 0x0
	global_load_dwordx2 v[4:5], v6, s[4:5] glc
                                        ; implicit-def: $sgpr8_sgpr9
	s_waitcnt lgkmcnt(0)
	v_div_scale_f64 v[2:3], s[6:7], s[0:1], s[0:1], v[0:1]
	v_rcp_f64_e32 v[8:9], v[2:3]
	v_div_scale_f64 v[10:11], vcc, v[0:1], s[0:1], v[0:1]
	s_mov_b32 s6, 0
	v_fma_f64 v[12:13], -v[2:3], v[8:9], 1.0
	v_fmac_f64_e32 v[8:9], v[8:9], v[12:13]
	v_fma_f64 v[12:13], -v[2:3], v[8:9], 1.0
	v_fmac_f64_e32 v[8:9], v[8:9], v[12:13]
	v_mul_f64 v[12:13], v[10:11], v[8:9]
	v_fma_f64 v[2:3], -v[2:3], v[12:13], v[10:11]
	v_div_fmas_f64 v[2:3], v[2:3], v[8:9], v[12:13]
	s_brev_b32 s7, 1
	v_div_fixup_f64 v[2:3], v[2:3], s[0:1], v[0:1]
	v_cmp_eq_f64_e32 vcc, 0, v[2:3]
	s_waitcnt vmcnt(0)
	v_cmp_eq_u64_e64 s[10:11], s[6:7], v[4:5]
                                        ; implicit-def: $sgpr6_sgpr7
	s_branch .LBB84_32
.LBB84_31:                              ;   in Loop: Header=BB84_32 Depth=1
	s_or_b64 exec, exec, s[12:13]
	s_and_b64 s[0:1], exec, s[6:7]
	s_or_b64 s[2:3], s[0:1], s[2:3]
	s_andn2_b64 s[0:1], s[10:11], exec
	s_and_b64 s[10:11], s[8:9], exec
	s_or_b64 s[10:11], s[0:1], s[10:11]
	s_andn2_b64 exec, exec, s[2:3]
	s_cbranch_execz .LBB84_34
.LBB84_32:                              ; =>This Inner Loop Header: Depth=1
	v_cmp_lt_f64_e64 s[0:1], v[4:5], v[2:3]
	s_and_b64 s[12:13], vcc, s[10:11]
	s_or_b64 s[0:1], s[0:1], s[12:13]
	s_andn2_b64 s[8:9], s[8:9], exec
	s_or_b64 s[6:7], s[6:7], exec
	s_and_saveexec_b64 s[12:13], s[0:1]
	s_cbranch_execz .LBB84_31
; %bb.33:                               ;   in Loop: Header=BB84_32 Depth=1
	global_atomic_cmpswap_x2 v[8:9], v6, v[2:5], s[4:5] glc
	s_andn2_b64 s[6:7], s[6:7], exec
	s_andn2_b64 s[8:9], s[8:9], exec
                                        ; implicit-def: $sgpr10_sgpr11
	s_waitcnt vmcnt(0)
	v_cmp_eq_u64_e64 s[0:1], v[8:9], v[4:5]
	v_cndmask_b32_e64 v5, v9, v5, s[0:1]
	v_cndmask_b32_e64 v4, v8, v4, s[0:1]
	s_and_b64 s[0:1], s[0:1], exec
	v_cmp_class_f64_e64 s[14:15], v[4:5], 32
	s_or_b64 s[6:7], s[6:7], s[0:1]
	s_and_b64 s[0:1], s[14:15], exec
	s_or_b64 s[8:9], s[8:9], s[0:1]
	v_pk_mov_b32 v[4:5], v[8:9], v[8:9] op_sel:[0,1]
	s_branch .LBB84_31
.LBB84_34:
	s_or_b64 exec, exec, s[2:3]
	s_branch .LBB84_40
.LBB84_35:
	s_cbranch_execz .LBB84_40
; %bb.36:
	v_mov_b32_e32 v4, 0
	global_load_dwordx2 v[2:3], v4, s[4:5] glc
	s_mov_b32 s0, 0
	s_brev_b32 s1, 1
	s_mov_b64 s[2:3], 0
	v_cmp_eq_f64_e32 vcc, 0, v[0:1]
                                        ; implicit-def: $sgpr6_sgpr7
                                        ; implicit-def: $sgpr8_sgpr9
	s_waitcnt vmcnt(0)
	v_cmp_eq_u64_e64 s[10:11], s[0:1], v[2:3]
	s_branch .LBB84_38
.LBB84_37:                              ;   in Loop: Header=BB84_38 Depth=1
	s_or_b64 exec, exec, s[12:13]
	s_and_b64 s[0:1], exec, s[6:7]
	s_or_b64 s[2:3], s[0:1], s[2:3]
	s_andn2_b64 s[0:1], s[10:11], exec
	s_and_b64 s[10:11], s[8:9], exec
	s_or_b64 s[10:11], s[0:1], s[10:11]
	s_andn2_b64 exec, exec, s[2:3]
	s_cbranch_execz .LBB84_40
.LBB84_38:                              ; =>This Inner Loop Header: Depth=1
	v_cmp_lt_f64_e64 s[0:1], v[2:3], v[0:1]
	s_and_b64 s[12:13], vcc, s[10:11]
	s_or_b64 s[0:1], s[0:1], s[12:13]
	s_andn2_b64 s[8:9], s[8:9], exec
	s_or_b64 s[6:7], s[6:7], exec
	s_and_saveexec_b64 s[12:13], s[0:1]
	s_cbranch_execz .LBB84_37
; %bb.39:                               ;   in Loop: Header=BB84_38 Depth=1
	global_atomic_cmpswap_x2 v[6:7], v4, v[0:3], s[4:5] glc
	s_andn2_b64 s[6:7], s[6:7], exec
	s_andn2_b64 s[8:9], s[8:9], exec
                                        ; implicit-def: $sgpr10_sgpr11
	s_waitcnt vmcnt(0)
	v_cmp_eq_u64_e64 s[0:1], v[6:7], v[2:3]
	v_cndmask_b32_e64 v3, v7, v3, s[0:1]
	v_cndmask_b32_e64 v2, v6, v2, s[0:1]
	s_and_b64 s[0:1], s[0:1], exec
	v_cmp_class_f64_e64 s[14:15], v[2:3], 32
	s_or_b64 s[6:7], s[6:7], s[0:1]
	s_and_b64 s[0:1], s[14:15], exec
	s_or_b64 s[8:9], s[8:9], s[0:1]
	v_pk_mov_b32 v[2:3], v[6:7], v[6:7] op_sel:[0,1]
	s_branch .LBB84_37
.LBB84_40:
	s_endpgm
	.section	.rodata,"a",@progbits
	.p2align	6, 0x0
	.amdhsa_kernel _ZN9rocsparseL18kernel_nrminf_diffILj1024E21rocsparse_complex_numIdEEEvmPKT0_S5_PNS_15floating_traitsIS3_E6data_tEPKS8_
		.amdhsa_group_segment_fixed_size 8192
		.amdhsa_private_segment_fixed_size 0
		.amdhsa_kernarg_size 40
		.amdhsa_user_sgpr_count 6
		.amdhsa_user_sgpr_private_segment_buffer 1
		.amdhsa_user_sgpr_dispatch_ptr 0
		.amdhsa_user_sgpr_queue_ptr 0
		.amdhsa_user_sgpr_kernarg_segment_ptr 1
		.amdhsa_user_sgpr_dispatch_id 0
		.amdhsa_user_sgpr_flat_scratch_init 0
		.amdhsa_user_sgpr_kernarg_preload_length 0
		.amdhsa_user_sgpr_kernarg_preload_offset 0
		.amdhsa_user_sgpr_private_segment_size 0
		.amdhsa_uses_dynamic_stack 0
		.amdhsa_system_sgpr_private_segment_wavefront_offset 0
		.amdhsa_system_sgpr_workgroup_id_x 1
		.amdhsa_system_sgpr_workgroup_id_y 0
		.amdhsa_system_sgpr_workgroup_id_z 0
		.amdhsa_system_sgpr_workgroup_info 0
		.amdhsa_system_vgpr_workitem_id 0
		.amdhsa_next_free_vgpr 14
		.amdhsa_next_free_sgpr 16
		.amdhsa_accum_offset 16
		.amdhsa_reserve_vcc 1
		.amdhsa_reserve_flat_scratch 0
		.amdhsa_float_round_mode_32 0
		.amdhsa_float_round_mode_16_64 0
		.amdhsa_float_denorm_mode_32 3
		.amdhsa_float_denorm_mode_16_64 3
		.amdhsa_dx10_clamp 1
		.amdhsa_ieee_mode 1
		.amdhsa_fp16_overflow 0
		.amdhsa_tg_split 0
		.amdhsa_exception_fp_ieee_invalid_op 0
		.amdhsa_exception_fp_denorm_src 0
		.amdhsa_exception_fp_ieee_div_zero 0
		.amdhsa_exception_fp_ieee_overflow 0
		.amdhsa_exception_fp_ieee_underflow 0
		.amdhsa_exception_fp_ieee_inexact 0
		.amdhsa_exception_int_div_zero 0
	.end_amdhsa_kernel
	.section	.text._ZN9rocsparseL18kernel_nrminf_diffILj1024E21rocsparse_complex_numIdEEEvmPKT0_S5_PNS_15floating_traitsIS3_E6data_tEPKS8_,"axG",@progbits,_ZN9rocsparseL18kernel_nrminf_diffILj1024E21rocsparse_complex_numIdEEEvmPKT0_S5_PNS_15floating_traitsIS3_E6data_tEPKS8_,comdat
.Lfunc_end84:
	.size	_ZN9rocsparseL18kernel_nrminf_diffILj1024E21rocsparse_complex_numIdEEEvmPKT0_S5_PNS_15floating_traitsIS3_E6data_tEPKS8_, .Lfunc_end84-_ZN9rocsparseL18kernel_nrminf_diffILj1024E21rocsparse_complex_numIdEEEvmPKT0_S5_PNS_15floating_traitsIS3_E6data_tEPKS8_
                                        ; -- End function
	.section	.AMDGPU.csdata,"",@progbits
; Kernel info:
; codeLenInByte = 1792
; NumSgprs: 20
; NumVgprs: 14
; NumAgprs: 0
; TotalNumVgprs: 14
; ScratchSize: 0
; MemoryBound: 0
; FloatMode: 240
; IeeeMode: 1
; LDSByteSize: 8192 bytes/workgroup (compile time only)
; SGPRBlocks: 2
; VGPRBlocks: 1
; NumSGPRsForWavesPerEU: 20
; NumVGPRsForWavesPerEU: 14
; AccumOffset: 16
; Occupancy: 8
; WaveLimiterHint : 0
; COMPUTE_PGM_RSRC2:SCRATCH_EN: 0
; COMPUTE_PGM_RSRC2:USER_SGPR: 6
; COMPUTE_PGM_RSRC2:TRAP_HANDLER: 0
; COMPUTE_PGM_RSRC2:TGID_X_EN: 1
; COMPUTE_PGM_RSRC2:TGID_Y_EN: 0
; COMPUTE_PGM_RSRC2:TGID_Z_EN: 0
; COMPUTE_PGM_RSRC2:TIDIG_COMP_CNT: 0
; COMPUTE_PGM_RSRC3_GFX90A:ACCUM_OFFSET: 3
; COMPUTE_PGM_RSRC3_GFX90A:TG_SPLIT: 0
	.section	.text._ZN9rocsparseL13kernel_nrminfILj1024E21rocsparse_complex_numIdEEEvmPKT0_PNS_15floating_traitsIS3_E6data_tEPKS8_,"axG",@progbits,_ZN9rocsparseL13kernel_nrminfILj1024E21rocsparse_complex_numIdEEEvmPKT0_PNS_15floating_traitsIS3_E6data_tEPKS8_,comdat
	.globl	_ZN9rocsparseL13kernel_nrminfILj1024E21rocsparse_complex_numIdEEEvmPKT0_PNS_15floating_traitsIS3_E6data_tEPKS8_ ; -- Begin function _ZN9rocsparseL13kernel_nrminfILj1024E21rocsparse_complex_numIdEEEvmPKT0_PNS_15floating_traitsIS3_E6data_tEPKS8_
	.p2align	8
	.type	_ZN9rocsparseL13kernel_nrminfILj1024E21rocsparse_complex_numIdEEEvmPKT0_PNS_15floating_traitsIS3_E6data_tEPKS8_,@function
_ZN9rocsparseL13kernel_nrminfILj1024E21rocsparse_complex_numIdEEEvmPKT0_PNS_15floating_traitsIS3_E6data_tEPKS8_: ; @_ZN9rocsparseL13kernel_nrminfILj1024E21rocsparse_complex_numIdEEEvmPKT0_PNS_15floating_traitsIS3_E6data_tEPKS8_
; %bb.0:
	s_load_dwordx2 s[0:1], s[4:5], 0x0
	v_mov_b32_e32 v3, 0
	v_lshl_or_b32 v2, s6, 10, v0
	v_pk_mov_b32 v[8:9], 0, 0
	s_waitcnt lgkmcnt(0)
	v_cmp_gt_u64_e32 vcc, s[0:1], v[2:3]
	s_and_saveexec_b64 s[0:1], vcc
	s_cbranch_execz .LBB85_8
; %bb.1:
	s_load_dwordx2 s[2:3], s[4:5], 0x8
	v_lshlrev_b64 v[2:3], 4, v[2:3]
                                        ; implicit-def: $vgpr8_vgpr9
	s_waitcnt lgkmcnt(0)
	v_mov_b32_e32 v1, s3
	v_add_co_u32_e32 v2, vcc, s2, v2
	v_addc_co_u32_e32 v3, vcc, v1, v3, vcc
	global_load_dwordx4 v[2:5], v[2:3], off
	s_waitcnt vmcnt(0)
	v_xor_b32_e32 v1, 0x80000000, v3
	v_cmp_gt_f64_e32 vcc, 0, v[2:3]
	v_xor_b32_e32 v6, 0x80000000, v5
	v_cndmask_b32_e32 v3, v3, v1, vcc
	v_cmp_gt_f64_e32 vcc, 0, v[4:5]
	v_cndmask_b32_e32 v7, v5, v6, vcc
	v_mov_b32_e32 v6, v4
	v_cmp_ngt_f64_e32 vcc, v[2:3], v[6:7]
	s_and_saveexec_b64 s[2:3], vcc
	s_xor_b64 s[2:3], exec, s[2:3]
	s_cbranch_execz .LBB85_5
; %bb.2:
	v_cmp_neq_f64_e32 vcc, 0, v[4:5]
	v_pk_mov_b32 v[8:9], 0, 0
	s_and_saveexec_b64 s[6:7], vcc
	s_cbranch_execz .LBB85_4
; %bb.3:
	v_div_scale_f64 v[4:5], s[8:9], v[6:7], v[6:7], v[2:3]
	v_rcp_f64_e32 v[8:9], v[4:5]
	v_div_scale_f64 v[10:11], vcc, v[2:3], v[6:7], v[2:3]
	s_mov_b32 s8, 0
	v_fma_f64 v[12:13], -v[4:5], v[8:9], 1.0
	v_fmac_f64_e32 v[8:9], v[8:9], v[12:13]
	v_fma_f64 v[12:13], -v[4:5], v[8:9], 1.0
	v_fmac_f64_e32 v[8:9], v[8:9], v[12:13]
	v_mul_f64 v[12:13], v[10:11], v[8:9]
	v_fma_f64 v[4:5], -v[4:5], v[12:13], v[10:11]
	v_div_fmas_f64 v[4:5], v[4:5], v[8:9], v[12:13]
	v_div_fixup_f64 v[2:3], v[4:5], v[6:7], v[2:3]
	v_fma_f64 v[2:3], v[2:3], v[2:3], 1.0
	s_brev_b32 s9, 8
	v_cmp_gt_f64_e32 vcc, s[8:9], v[2:3]
	v_cndmask_b32_e64 v1, 0, 1, vcc
	v_lshlrev_b32_e32 v1, 8, v1
	v_ldexp_f64 v[2:3], v[2:3], v1
	v_rsq_f64_e32 v[4:5], v[2:3]
	v_mov_b32_e32 v1, 0xffffff80
	v_cndmask_b32_e32 v1, 0, v1, vcc
	v_mul_f64 v[8:9], v[2:3], v[4:5]
	v_mul_f64 v[4:5], v[4:5], 0.5
	v_fma_f64 v[10:11], -v[4:5], v[8:9], 0.5
	v_fmac_f64_e32 v[8:9], v[8:9], v[10:11]
	v_fma_f64 v[12:13], -v[8:9], v[8:9], v[2:3]
	v_fmac_f64_e32 v[4:5], v[4:5], v[10:11]
	v_fmac_f64_e32 v[8:9], v[12:13], v[4:5]
	v_fma_f64 v[10:11], -v[8:9], v[8:9], v[2:3]
	v_fmac_f64_e32 v[8:9], v[10:11], v[4:5]
	v_ldexp_f64 v[4:5], v[8:9], v1
	v_mov_b32_e32 v1, 0x260
	v_cmp_class_f64_e32 vcc, v[2:3], v1
	v_cndmask_b32_e32 v3, v5, v3, vcc
	v_cndmask_b32_e32 v2, v4, v2, vcc
	v_mul_f64 v[8:9], v[6:7], v[2:3]
.LBB85_4:
	s_or_b64 exec, exec, s[6:7]
                                        ; implicit-def: $vgpr2_vgpr3
                                        ; implicit-def: $vgpr6_vgpr7
.LBB85_5:
	s_andn2_saveexec_b64 s[2:3], s[2:3]
	s_cbranch_execz .LBB85_7
; %bb.6:
	v_div_scale_f64 v[4:5], s[6:7], v[2:3], v[2:3], v[6:7]
	v_rcp_f64_e32 v[8:9], v[4:5]
	v_div_scale_f64 v[10:11], vcc, v[6:7], v[2:3], v[6:7]
	s_mov_b32 s6, 0
	v_fma_f64 v[12:13], -v[4:5], v[8:9], 1.0
	v_fmac_f64_e32 v[8:9], v[8:9], v[12:13]
	v_fma_f64 v[12:13], -v[4:5], v[8:9], 1.0
	v_fmac_f64_e32 v[8:9], v[8:9], v[12:13]
	v_mul_f64 v[12:13], v[10:11], v[8:9]
	v_fma_f64 v[4:5], -v[4:5], v[12:13], v[10:11]
	v_div_fmas_f64 v[4:5], v[4:5], v[8:9], v[12:13]
	v_div_fixup_f64 v[4:5], v[4:5], v[2:3], v[6:7]
	v_fma_f64 v[4:5], v[4:5], v[4:5], 1.0
	s_brev_b32 s7, 8
	v_cmp_gt_f64_e32 vcc, s[6:7], v[4:5]
	v_cndmask_b32_e64 v1, 0, 1, vcc
	v_lshlrev_b32_e32 v1, 8, v1
	v_ldexp_f64 v[4:5], v[4:5], v1
	v_rsq_f64_e32 v[6:7], v[4:5]
	v_mov_b32_e32 v1, 0xffffff80
	v_cndmask_b32_e32 v1, 0, v1, vcc
	v_mul_f64 v[8:9], v[4:5], v[6:7]
	v_mul_f64 v[6:7], v[6:7], 0.5
	v_fma_f64 v[10:11], -v[6:7], v[8:9], 0.5
	v_fmac_f64_e32 v[8:9], v[8:9], v[10:11]
	v_fma_f64 v[12:13], -v[8:9], v[8:9], v[4:5]
	v_fmac_f64_e32 v[6:7], v[6:7], v[10:11]
	v_fmac_f64_e32 v[8:9], v[12:13], v[6:7]
	v_fma_f64 v[10:11], -v[8:9], v[8:9], v[4:5]
	v_fmac_f64_e32 v[8:9], v[10:11], v[6:7]
	v_ldexp_f64 v[6:7], v[8:9], v1
	v_mov_b32_e32 v1, 0x260
	v_cmp_class_f64_e32 vcc, v[4:5], v1
	v_cndmask_b32_e32 v5, v7, v5, vcc
	v_cndmask_b32_e32 v4, v6, v4, vcc
	v_mul_f64 v[8:9], v[2:3], v[4:5]
.LBB85_7:
	s_or_b64 exec, exec, s[2:3]
.LBB85_8:
	s_or_b64 exec, exec, s[0:1]
	s_movk_i32 s0, 0x200
	v_lshlrev_b32_e32 v1, 3, v0
	v_cmp_gt_u32_e32 vcc, s0, v0
	ds_write_b64 v1, v[8:9]
	s_waitcnt lgkmcnt(0)
	s_barrier
	s_and_saveexec_b64 s[0:1], vcc
	s_cbranch_execz .LBB85_10
; %bb.9:
	ds_read2st64_b64 v[2:5], v1 offset1:8
	s_waitcnt lgkmcnt(0)
	v_cmp_lt_f64_e32 vcc, v[2:3], v[4:5]
	v_cndmask_b32_e32 v3, v3, v5, vcc
	v_cndmask_b32_e32 v2, v2, v4, vcc
	ds_write_b64 v1, v[2:3]
.LBB85_10:
	s_or_b64 exec, exec, s[0:1]
	s_movk_i32 s0, 0x100
	v_cmp_gt_u32_e32 vcc, s0, v0
	s_waitcnt lgkmcnt(0)
	s_barrier
	s_and_saveexec_b64 s[0:1], vcc
	s_cbranch_execz .LBB85_12
; %bb.11:
	ds_read2st64_b64 v[2:5], v1 offset1:4
	s_waitcnt lgkmcnt(0)
	v_cmp_lt_f64_e32 vcc, v[2:3], v[4:5]
	v_cndmask_b32_e32 v3, v3, v5, vcc
	v_cndmask_b32_e32 v2, v2, v4, vcc
	ds_write_b64 v1, v[2:3]
.LBB85_12:
	s_or_b64 exec, exec, s[0:1]
	s_movk_i32 s0, 0x80
	v_cmp_gt_u32_e32 vcc, s0, v0
	s_waitcnt lgkmcnt(0)
	s_barrier
	s_and_saveexec_b64 s[0:1], vcc
	s_cbranch_execz .LBB85_14
; %bb.13:
	ds_read2st64_b64 v[2:5], v1 offset1:2
	s_waitcnt lgkmcnt(0)
	v_cmp_lt_f64_e32 vcc, v[2:3], v[4:5]
	v_cndmask_b32_e32 v3, v3, v5, vcc
	v_cndmask_b32_e32 v2, v2, v4, vcc
	ds_write_b64 v1, v[2:3]
.LBB85_14:
	s_or_b64 exec, exec, s[0:1]
	v_cmp_gt_u32_e32 vcc, 64, v0
	s_waitcnt lgkmcnt(0)
	s_barrier
	s_and_saveexec_b64 s[0:1], vcc
	s_cbranch_execz .LBB85_16
; %bb.15:
	ds_read2st64_b64 v[2:5], v1 offset1:1
	s_waitcnt lgkmcnt(0)
	v_cmp_lt_f64_e32 vcc, v[2:3], v[4:5]
	v_cndmask_b32_e32 v3, v3, v5, vcc
	v_cndmask_b32_e32 v2, v2, v4, vcc
	ds_write_b64 v1, v[2:3]
.LBB85_16:
	s_or_b64 exec, exec, s[0:1]
	v_cmp_gt_u32_e32 vcc, 32, v0
	s_waitcnt lgkmcnt(0)
	s_barrier
	s_and_saveexec_b64 s[0:1], vcc
	s_cbranch_execz .LBB85_18
; %bb.17:
	ds_read2_b64 v[2:5], v1 offset1:32
	s_waitcnt lgkmcnt(0)
	v_cmp_lt_f64_e32 vcc, v[2:3], v[4:5]
	v_cndmask_b32_e32 v3, v3, v5, vcc
	v_cndmask_b32_e32 v2, v2, v4, vcc
	ds_write_b64 v1, v[2:3]
.LBB85_18:
	s_or_b64 exec, exec, s[0:1]
	v_cmp_gt_u32_e32 vcc, 16, v0
	s_waitcnt lgkmcnt(0)
	s_barrier
	s_and_saveexec_b64 s[0:1], vcc
	s_cbranch_execz .LBB85_20
; %bb.19:
	ds_read2_b64 v[2:5], v1 offset1:16
	s_waitcnt lgkmcnt(0)
	v_cmp_lt_f64_e32 vcc, v[2:3], v[4:5]
	v_cndmask_b32_e32 v3, v3, v5, vcc
	v_cndmask_b32_e32 v2, v2, v4, vcc
	ds_write_b64 v1, v[2:3]
.LBB85_20:
	;; [unrolled: 14-line block ×5, first 2 shown]
	s_or_b64 exec, exec, s[0:1]
	v_cmp_eq_u32_e32 vcc, 0, v0
	s_waitcnt lgkmcnt(0)
	s_barrier
	s_and_saveexec_b64 s[2:3], vcc
	s_cbranch_execz .LBB85_28
; %bb.27:
	v_mov_b32_e32 v4, 0
	ds_read_b128 v[0:3], v4
	s_waitcnt lgkmcnt(0)
	v_cmp_lt_f64_e64 s[0:1], v[0:1], v[2:3]
	v_cndmask_b32_e64 v1, v1, v3, s[0:1]
	v_cndmask_b32_e64 v0, v0, v2, s[0:1]
	ds_write_b64 v4, v[0:1]
.LBB85_28:
	s_or_b64 exec, exec, s[2:3]
	s_waitcnt lgkmcnt(0)
	s_barrier
	s_and_saveexec_b64 s[0:1], vcc
	s_cbranch_execz .LBB85_40
; %bb.29:
	s_load_dwordx4 s[4:7], s[4:5], 0x10
	v_mov_b32_e32 v6, 0
	ds_read_b64 v[0:1], v6
	s_mov_b64 s[2:3], 0
	s_waitcnt lgkmcnt(0)
	s_cmp_eq_u64 s[6:7], 0
	s_cbranch_scc1 .LBB85_35
; %bb.30:
	s_load_dwordx2 s[0:1], s[6:7], 0x0
	global_load_dwordx2 v[4:5], v6, s[4:5] glc
                                        ; implicit-def: $sgpr8_sgpr9
	s_waitcnt lgkmcnt(0)
	v_div_scale_f64 v[2:3], s[6:7], s[0:1], s[0:1], v[0:1]
	v_rcp_f64_e32 v[8:9], v[2:3]
	v_div_scale_f64 v[10:11], vcc, v[0:1], s[0:1], v[0:1]
	s_mov_b32 s6, 0
	v_fma_f64 v[12:13], -v[2:3], v[8:9], 1.0
	v_fmac_f64_e32 v[8:9], v[8:9], v[12:13]
	v_fma_f64 v[12:13], -v[2:3], v[8:9], 1.0
	v_fmac_f64_e32 v[8:9], v[8:9], v[12:13]
	v_mul_f64 v[12:13], v[10:11], v[8:9]
	v_fma_f64 v[2:3], -v[2:3], v[12:13], v[10:11]
	v_div_fmas_f64 v[2:3], v[2:3], v[8:9], v[12:13]
	s_brev_b32 s7, 1
	v_div_fixup_f64 v[2:3], v[2:3], s[0:1], v[0:1]
	v_cmp_eq_f64_e32 vcc, 0, v[2:3]
	s_waitcnt vmcnt(0)
	v_cmp_eq_u64_e64 s[10:11], s[6:7], v[4:5]
                                        ; implicit-def: $sgpr6_sgpr7
	s_branch .LBB85_32
.LBB85_31:                              ;   in Loop: Header=BB85_32 Depth=1
	s_or_b64 exec, exec, s[12:13]
	s_and_b64 s[0:1], exec, s[6:7]
	s_or_b64 s[2:3], s[0:1], s[2:3]
	s_andn2_b64 s[0:1], s[10:11], exec
	s_and_b64 s[10:11], s[8:9], exec
	s_or_b64 s[10:11], s[0:1], s[10:11]
	s_andn2_b64 exec, exec, s[2:3]
	s_cbranch_execz .LBB85_34
.LBB85_32:                              ; =>This Inner Loop Header: Depth=1
	v_cmp_lt_f64_e64 s[0:1], v[4:5], v[2:3]
	s_and_b64 s[12:13], vcc, s[10:11]
	s_or_b64 s[0:1], s[0:1], s[12:13]
	s_andn2_b64 s[8:9], s[8:9], exec
	s_or_b64 s[6:7], s[6:7], exec
	s_and_saveexec_b64 s[12:13], s[0:1]
	s_cbranch_execz .LBB85_31
; %bb.33:                               ;   in Loop: Header=BB85_32 Depth=1
	global_atomic_cmpswap_x2 v[8:9], v6, v[2:5], s[4:5] glc
	s_andn2_b64 s[6:7], s[6:7], exec
	s_andn2_b64 s[8:9], s[8:9], exec
                                        ; implicit-def: $sgpr10_sgpr11
	s_waitcnt vmcnt(0)
	v_cmp_eq_u64_e64 s[0:1], v[8:9], v[4:5]
	v_cndmask_b32_e64 v5, v9, v5, s[0:1]
	v_cndmask_b32_e64 v4, v8, v4, s[0:1]
	s_and_b64 s[0:1], s[0:1], exec
	v_cmp_class_f64_e64 s[14:15], v[4:5], 32
	s_or_b64 s[6:7], s[6:7], s[0:1]
	s_and_b64 s[0:1], s[14:15], exec
	s_or_b64 s[8:9], s[8:9], s[0:1]
	v_pk_mov_b32 v[4:5], v[8:9], v[8:9] op_sel:[0,1]
	s_branch .LBB85_31
.LBB85_34:
	s_or_b64 exec, exec, s[2:3]
	s_branch .LBB85_40
.LBB85_35:
	s_cbranch_execz .LBB85_40
; %bb.36:
	v_mov_b32_e32 v4, 0
	global_load_dwordx2 v[2:3], v4, s[4:5] glc
	s_mov_b32 s0, 0
	s_brev_b32 s1, 1
	s_mov_b64 s[2:3], 0
	v_cmp_eq_f64_e32 vcc, 0, v[0:1]
                                        ; implicit-def: $sgpr6_sgpr7
                                        ; implicit-def: $sgpr8_sgpr9
	s_waitcnt vmcnt(0)
	v_cmp_eq_u64_e64 s[10:11], s[0:1], v[2:3]
	s_branch .LBB85_38
.LBB85_37:                              ;   in Loop: Header=BB85_38 Depth=1
	s_or_b64 exec, exec, s[12:13]
	s_and_b64 s[0:1], exec, s[6:7]
	s_or_b64 s[2:3], s[0:1], s[2:3]
	s_andn2_b64 s[0:1], s[10:11], exec
	s_and_b64 s[10:11], s[8:9], exec
	s_or_b64 s[10:11], s[0:1], s[10:11]
	s_andn2_b64 exec, exec, s[2:3]
	s_cbranch_execz .LBB85_40
.LBB85_38:                              ; =>This Inner Loop Header: Depth=1
	v_cmp_lt_f64_e64 s[0:1], v[2:3], v[0:1]
	s_and_b64 s[12:13], vcc, s[10:11]
	s_or_b64 s[0:1], s[0:1], s[12:13]
	s_andn2_b64 s[8:9], s[8:9], exec
	s_or_b64 s[6:7], s[6:7], exec
	s_and_saveexec_b64 s[12:13], s[0:1]
	s_cbranch_execz .LBB85_37
; %bb.39:                               ;   in Loop: Header=BB85_38 Depth=1
	global_atomic_cmpswap_x2 v[6:7], v4, v[0:3], s[4:5] glc
	s_andn2_b64 s[6:7], s[6:7], exec
	s_andn2_b64 s[8:9], s[8:9], exec
                                        ; implicit-def: $sgpr10_sgpr11
	s_waitcnt vmcnt(0)
	v_cmp_eq_u64_e64 s[0:1], v[6:7], v[2:3]
	v_cndmask_b32_e64 v3, v7, v3, s[0:1]
	v_cndmask_b32_e64 v2, v6, v2, s[0:1]
	s_and_b64 s[0:1], s[0:1], exec
	v_cmp_class_f64_e64 s[14:15], v[2:3], 32
	s_or_b64 s[6:7], s[6:7], s[0:1]
	s_and_b64 s[0:1], s[14:15], exec
	s_or_b64 s[8:9], s[8:9], s[0:1]
	v_pk_mov_b32 v[2:3], v[6:7], v[6:7] op_sel:[0,1]
	s_branch .LBB85_37
.LBB85_40:
	s_endpgm
	.section	.rodata,"a",@progbits
	.p2align	6, 0x0
	.amdhsa_kernel _ZN9rocsparseL13kernel_nrminfILj1024E21rocsparse_complex_numIdEEEvmPKT0_PNS_15floating_traitsIS3_E6data_tEPKS8_
		.amdhsa_group_segment_fixed_size 8192
		.amdhsa_private_segment_fixed_size 0
		.amdhsa_kernarg_size 32
		.amdhsa_user_sgpr_count 6
		.amdhsa_user_sgpr_private_segment_buffer 1
		.amdhsa_user_sgpr_dispatch_ptr 0
		.amdhsa_user_sgpr_queue_ptr 0
		.amdhsa_user_sgpr_kernarg_segment_ptr 1
		.amdhsa_user_sgpr_dispatch_id 0
		.amdhsa_user_sgpr_flat_scratch_init 0
		.amdhsa_user_sgpr_kernarg_preload_length 0
		.amdhsa_user_sgpr_kernarg_preload_offset 0
		.amdhsa_user_sgpr_private_segment_size 0
		.amdhsa_uses_dynamic_stack 0
		.amdhsa_system_sgpr_private_segment_wavefront_offset 0
		.amdhsa_system_sgpr_workgroup_id_x 1
		.amdhsa_system_sgpr_workgroup_id_y 0
		.amdhsa_system_sgpr_workgroup_id_z 0
		.amdhsa_system_sgpr_workgroup_info 0
		.amdhsa_system_vgpr_workitem_id 0
		.amdhsa_next_free_vgpr 14
		.amdhsa_next_free_sgpr 16
		.amdhsa_accum_offset 16
		.amdhsa_reserve_vcc 1
		.amdhsa_reserve_flat_scratch 0
		.amdhsa_float_round_mode_32 0
		.amdhsa_float_round_mode_16_64 0
		.amdhsa_float_denorm_mode_32 3
		.amdhsa_float_denorm_mode_16_64 3
		.amdhsa_dx10_clamp 1
		.amdhsa_ieee_mode 1
		.amdhsa_fp16_overflow 0
		.amdhsa_tg_split 0
		.amdhsa_exception_fp_ieee_invalid_op 0
		.amdhsa_exception_fp_denorm_src 0
		.amdhsa_exception_fp_ieee_div_zero 0
		.amdhsa_exception_fp_ieee_overflow 0
		.amdhsa_exception_fp_ieee_underflow 0
		.amdhsa_exception_fp_ieee_inexact 0
		.amdhsa_exception_int_div_zero 0
	.end_amdhsa_kernel
	.section	.text._ZN9rocsparseL13kernel_nrminfILj1024E21rocsparse_complex_numIdEEEvmPKT0_PNS_15floating_traitsIS3_E6data_tEPKS8_,"axG",@progbits,_ZN9rocsparseL13kernel_nrminfILj1024E21rocsparse_complex_numIdEEEvmPKT0_PNS_15floating_traitsIS3_E6data_tEPKS8_,comdat
.Lfunc_end85:
	.size	_ZN9rocsparseL13kernel_nrminfILj1024E21rocsparse_complex_numIdEEEvmPKT0_PNS_15floating_traitsIS3_E6data_tEPKS8_, .Lfunc_end85-_ZN9rocsparseL13kernel_nrminfILj1024E21rocsparse_complex_numIdEEEvmPKT0_PNS_15floating_traitsIS3_E6data_tEPKS8_
                                        ; -- End function
	.section	.AMDGPU.csdata,"",@progbits
; Kernel info:
; codeLenInByte = 1752
; NumSgprs: 20
; NumVgprs: 14
; NumAgprs: 0
; TotalNumVgprs: 14
; ScratchSize: 0
; MemoryBound: 0
; FloatMode: 240
; IeeeMode: 1
; LDSByteSize: 8192 bytes/workgroup (compile time only)
; SGPRBlocks: 2
; VGPRBlocks: 1
; NumSGPRsForWavesPerEU: 20
; NumVGPRsForWavesPerEU: 14
; AccumOffset: 16
; Occupancy: 8
; WaveLimiterHint : 0
; COMPUTE_PGM_RSRC2:SCRATCH_EN: 0
; COMPUTE_PGM_RSRC2:USER_SGPR: 6
; COMPUTE_PGM_RSRC2:TRAP_HANDLER: 0
; COMPUTE_PGM_RSRC2:TGID_X_EN: 1
; COMPUTE_PGM_RSRC2:TGID_Y_EN: 0
; COMPUTE_PGM_RSRC2:TGID_Z_EN: 0
; COMPUTE_PGM_RSRC2:TIDIG_COMP_CNT: 0
; COMPUTE_PGM_RSRC3_GFX90A:ACCUM_OFFSET: 3
; COMPUTE_PGM_RSRC3_GFX90A:TG_SPLIT: 0
	.section	.text._ZN9rocsparseL18kernel_nrminf_diffILj512EfEEvmPKT0_S3_PNS_15floating_traitsIS1_E6data_tEPKS6_,"axG",@progbits,_ZN9rocsparseL18kernel_nrminf_diffILj512EfEEvmPKT0_S3_PNS_15floating_traitsIS1_E6data_tEPKS6_,comdat
	.globl	_ZN9rocsparseL18kernel_nrminf_diffILj512EfEEvmPKT0_S3_PNS_15floating_traitsIS1_E6data_tEPKS6_ ; -- Begin function _ZN9rocsparseL18kernel_nrminf_diffILj512EfEEvmPKT0_S3_PNS_15floating_traitsIS1_E6data_tEPKS6_
	.p2align	8
	.type	_ZN9rocsparseL18kernel_nrminf_diffILj512EfEEvmPKT0_S3_PNS_15floating_traitsIS1_E6data_tEPKS6_,@function
_ZN9rocsparseL18kernel_nrminf_diffILj512EfEEvmPKT0_S3_PNS_15floating_traitsIS1_E6data_tEPKS6_: ; @_ZN9rocsparseL18kernel_nrminf_diffILj512EfEEvmPKT0_S3_PNS_15floating_traitsIS1_E6data_tEPKS6_
; %bb.0:
	s_load_dwordx2 s[0:1], s[4:5], 0x0
	v_lshl_or_b32 v2, s6, 9, v0
	v_mov_b32_e32 v3, 0
	s_waitcnt lgkmcnt(0)
	v_cmp_gt_u64_e32 vcc, s[0:1], v[2:3]
	s_and_saveexec_b64 s[0:1], vcc
	s_cbranch_execz .LBB86_2
; %bb.1:
	s_load_dwordx4 s[8:11], s[4:5], 0x8
	v_lshlrev_b64 v[2:3], 2, v[2:3]
	s_waitcnt lgkmcnt(0)
	v_mov_b32_e32 v1, s11
	v_add_co_u32_e32 v4, vcc, s10, v2
	v_addc_co_u32_e32 v5, vcc, v1, v3, vcc
	v_mov_b32_e32 v1, s9
	v_add_co_u32_e32 v2, vcc, s8, v2
	v_addc_co_u32_e32 v3, vcc, v1, v3, vcc
	global_load_dword v1, v[2:3], off
	global_load_dword v6, v[4:5], off
	s_waitcnt vmcnt(0)
	v_sub_f32_e32 v1, v1, v6
	v_and_b32_e32 v3, 0x7fffffff, v1
.LBB86_2:
	s_or_b64 exec, exec, s[0:1]
	s_movk_i32 s0, 0x100
	v_lshlrev_b32_e32 v1, 2, v0
	v_cmp_gt_u32_e32 vcc, s0, v0
	ds_write_b32 v1, v3
	s_waitcnt lgkmcnt(0)
	s_barrier
	s_and_saveexec_b64 s[0:1], vcc
	s_cbranch_execz .LBB86_4
; %bb.3:
	ds_read2st64_b32 v[2:3], v1 offset1:4
	s_waitcnt lgkmcnt(0)
	v_cmp_lt_f32_e32 vcc, v2, v3
	v_cndmask_b32_e32 v2, v2, v3, vcc
	ds_write_b32 v1, v2
.LBB86_4:
	s_or_b64 exec, exec, s[0:1]
	s_movk_i32 s0, 0x80
	v_cmp_gt_u32_e32 vcc, s0, v0
	s_waitcnt lgkmcnt(0)
	s_barrier
	s_and_saveexec_b64 s[0:1], vcc
	s_cbranch_execz .LBB86_6
; %bb.5:
	ds_read2st64_b32 v[2:3], v1 offset1:2
	s_waitcnt lgkmcnt(0)
	v_cmp_lt_f32_e32 vcc, v2, v3
	v_cndmask_b32_e32 v2, v2, v3, vcc
	ds_write_b32 v1, v2
.LBB86_6:
	s_or_b64 exec, exec, s[0:1]
	v_cmp_gt_u32_e32 vcc, 64, v0
	s_waitcnt lgkmcnt(0)
	s_barrier
	s_and_saveexec_b64 s[0:1], vcc
	s_cbranch_execz .LBB86_8
; %bb.7:
	ds_read2st64_b32 v[2:3], v1 offset1:1
	s_waitcnt lgkmcnt(0)
	v_cmp_lt_f32_e32 vcc, v2, v3
	v_cndmask_b32_e32 v2, v2, v3, vcc
	ds_write_b32 v1, v2
.LBB86_8:
	s_or_b64 exec, exec, s[0:1]
	v_cmp_gt_u32_e32 vcc, 32, v0
	s_waitcnt lgkmcnt(0)
	s_barrier
	s_and_saveexec_b64 s[0:1], vcc
	s_cbranch_execz .LBB86_10
; %bb.9:
	ds_read2_b32 v[2:3], v1 offset1:32
	s_waitcnt lgkmcnt(0)
	v_cmp_lt_f32_e32 vcc, v2, v3
	v_cndmask_b32_e32 v2, v2, v3, vcc
	ds_write_b32 v1, v2
.LBB86_10:
	s_or_b64 exec, exec, s[0:1]
	v_cmp_gt_u32_e32 vcc, 16, v0
	s_waitcnt lgkmcnt(0)
	s_barrier
	s_and_saveexec_b64 s[0:1], vcc
	s_cbranch_execz .LBB86_12
; %bb.11:
	ds_read2_b32 v[2:3], v1 offset1:16
	s_waitcnt lgkmcnt(0)
	v_cmp_lt_f32_e32 vcc, v2, v3
	v_cndmask_b32_e32 v2, v2, v3, vcc
	ds_write_b32 v1, v2
.LBB86_12:
	;; [unrolled: 13-line block ×5, first 2 shown]
	s_or_b64 exec, exec, s[0:1]
	v_cmp_eq_u32_e32 vcc, 0, v0
	s_waitcnt lgkmcnt(0)
	s_barrier
	s_and_saveexec_b64 s[2:3], vcc
	s_cbranch_execz .LBB86_20
; %bb.19:
	v_mov_b32_e32 v2, 0
	ds_read_b64 v[0:1], v2
	s_waitcnt lgkmcnt(0)
	v_cmp_lt_f32_e64 s[0:1], v0, v1
	v_cndmask_b32_e64 v0, v0, v1, s[0:1]
	ds_write_b32 v2, v0
.LBB86_20:
	s_or_b64 exec, exec, s[2:3]
	s_waitcnt lgkmcnt(0)
	s_barrier
	s_and_saveexec_b64 s[0:1], vcc
	s_cbranch_execz .LBB86_32
; %bb.21:
	s_load_dwordx4 s[4:7], s[4:5], 0x18
	v_mov_b32_e32 v1, 0
	ds_read_b32 v0, v1
	s_mov_b64 s[2:3], 0
	s_waitcnt lgkmcnt(0)
	s_cmp_eq_u64 s[6:7], 0
	s_cbranch_scc1 .LBB86_27
; %bb.22:
	s_load_dword s6, s[6:7], 0x0
	global_load_dword v3, v1, s[4:5] glc
                                        ; implicit-def: $sgpr10_sgpr11
	s_waitcnt lgkmcnt(0)
	v_div_scale_f32 v2, s[0:1], s6, s6, v0
	v_rcp_f32_e32 v4, v2
	v_div_scale_f32 v5, vcc, v0, s6, v0
	s_brev_b32 s0, 1
	v_fma_f32 v6, -v2, v4, 1.0
	v_fmac_f32_e32 v4, v6, v4
	v_mul_f32_e32 v6, v5, v4
	v_fma_f32 v7, -v2, v6, v5
	v_fmac_f32_e32 v6, v7, v4
	v_fma_f32 v2, -v2, v6, v5
	v_div_fmas_f32 v2, v2, v4, v6
	v_div_fixup_f32 v2, v2, s6, v0
	v_cmp_eq_f32_e32 vcc, 0, v2
                                        ; implicit-def: $sgpr6_sgpr7
	s_waitcnt vmcnt(0)
	v_cmp_eq_u32_e64 s[8:9], s0, v3
	s_branch .LBB86_24
.LBB86_23:                              ;   in Loop: Header=BB86_24 Depth=1
	s_or_b64 exec, exec, s[12:13]
	s_and_b64 s[0:1], exec, s[6:7]
	s_or_b64 s[2:3], s[0:1], s[2:3]
	s_andn2_b64 s[0:1], s[8:9], exec
	s_and_b64 s[8:9], s[10:11], exec
	s_or_b64 s[8:9], s[0:1], s[8:9]
	s_andn2_b64 exec, exec, s[2:3]
	s_cbranch_execz .LBB86_26
.LBB86_24:                              ; =>This Inner Loop Header: Depth=1
	v_cmp_lt_f32_e64 s[0:1], v3, v2
	s_and_b64 s[12:13], vcc, s[8:9]
	s_or_b64 s[0:1], s[0:1], s[12:13]
	s_andn2_b64 s[10:11], s[10:11], exec
	s_or_b64 s[6:7], s[6:7], exec
	s_and_saveexec_b64 s[12:13], s[0:1]
	s_cbranch_execz .LBB86_23
; %bb.25:                               ;   in Loop: Header=BB86_24 Depth=1
	global_atomic_cmpswap v4, v1, v[2:3], s[4:5] glc
	s_andn2_b64 s[10:11], s[10:11], exec
	s_andn2_b64 s[6:7], s[6:7], exec
                                        ; implicit-def: $sgpr8_sgpr9
	s_waitcnt vmcnt(0)
	v_cmp_eq_u32_e64 s[0:1], v4, v3
	v_cndmask_b32_e64 v3, v4, v3, s[0:1]
	v_cmp_class_f32_e64 s[14:15], v3, 32
	s_and_b64 s[0:1], s[0:1], exec
	s_and_b64 s[14:15], s[14:15], exec
	s_or_b64 s[6:7], s[6:7], s[0:1]
	s_or_b64 s[10:11], s[10:11], s[14:15]
	v_mov_b32_e32 v3, v4
	s_branch .LBB86_23
.LBB86_26:
	s_or_b64 exec, exec, s[2:3]
	s_branch .LBB86_32
.LBB86_27:
	s_cbranch_execz .LBB86_32
; %bb.28:
	v_mov_b32_e32 v2, 0
	global_load_dword v1, v2, s[4:5] glc
	s_brev_b32 s0, 1
	v_cmp_eq_f32_e32 vcc, 0, v0
	s_mov_b64 s[2:3], 0
                                        ; implicit-def: $sgpr6_sgpr7
                                        ; implicit-def: $sgpr10_sgpr11
	s_waitcnt vmcnt(0)
	v_cmp_eq_u32_e64 s[8:9], s0, v1
	s_branch .LBB86_30
.LBB86_29:                              ;   in Loop: Header=BB86_30 Depth=1
	s_or_b64 exec, exec, s[12:13]
	s_and_b64 s[0:1], exec, s[6:7]
	s_or_b64 s[2:3], s[0:1], s[2:3]
	s_andn2_b64 s[0:1], s[8:9], exec
	s_and_b64 s[8:9], s[10:11], exec
	s_or_b64 s[8:9], s[0:1], s[8:9]
	s_andn2_b64 exec, exec, s[2:3]
	s_cbranch_execz .LBB86_32
.LBB86_30:                              ; =>This Inner Loop Header: Depth=1
	v_cmp_lt_f32_e64 s[0:1], v1, v0
	s_and_b64 s[12:13], vcc, s[8:9]
	s_or_b64 s[0:1], s[0:1], s[12:13]
	s_andn2_b64 s[10:11], s[10:11], exec
	s_or_b64 s[6:7], s[6:7], exec
	s_and_saveexec_b64 s[12:13], s[0:1]
	s_cbranch_execz .LBB86_29
; %bb.31:                               ;   in Loop: Header=BB86_30 Depth=1
	global_atomic_cmpswap v3, v2, v[0:1], s[4:5] glc
	s_andn2_b64 s[10:11], s[10:11], exec
	s_andn2_b64 s[6:7], s[6:7], exec
                                        ; implicit-def: $sgpr8_sgpr9
	s_waitcnt vmcnt(0)
	v_cmp_eq_u32_e64 s[0:1], v3, v1
	v_cndmask_b32_e64 v1, v3, v1, s[0:1]
	v_cmp_class_f32_e64 s[14:15], v1, 32
	s_and_b64 s[0:1], s[0:1], exec
	s_and_b64 s[14:15], s[14:15], exec
	s_or_b64 s[6:7], s[6:7], s[0:1]
	s_or_b64 s[10:11], s[10:11], s[14:15]
	v_mov_b32_e32 v1, v3
	s_branch .LBB86_29
.LBB86_32:
	s_endpgm
	.section	.rodata,"a",@progbits
	.p2align	6, 0x0
	.amdhsa_kernel _ZN9rocsparseL18kernel_nrminf_diffILj512EfEEvmPKT0_S3_PNS_15floating_traitsIS1_E6data_tEPKS6_
		.amdhsa_group_segment_fixed_size 2048
		.amdhsa_private_segment_fixed_size 0
		.amdhsa_kernarg_size 40
		.amdhsa_user_sgpr_count 6
		.amdhsa_user_sgpr_private_segment_buffer 1
		.amdhsa_user_sgpr_dispatch_ptr 0
		.amdhsa_user_sgpr_queue_ptr 0
		.amdhsa_user_sgpr_kernarg_segment_ptr 1
		.amdhsa_user_sgpr_dispatch_id 0
		.amdhsa_user_sgpr_flat_scratch_init 0
		.amdhsa_user_sgpr_kernarg_preload_length 0
		.amdhsa_user_sgpr_kernarg_preload_offset 0
		.amdhsa_user_sgpr_private_segment_size 0
		.amdhsa_uses_dynamic_stack 0
		.amdhsa_system_sgpr_private_segment_wavefront_offset 0
		.amdhsa_system_sgpr_workgroup_id_x 1
		.amdhsa_system_sgpr_workgroup_id_y 0
		.amdhsa_system_sgpr_workgroup_id_z 0
		.amdhsa_system_sgpr_workgroup_info 0
		.amdhsa_system_vgpr_workitem_id 0
		.amdhsa_next_free_vgpr 8
		.amdhsa_next_free_sgpr 16
		.amdhsa_accum_offset 8
		.amdhsa_reserve_vcc 1
		.amdhsa_reserve_flat_scratch 0
		.amdhsa_float_round_mode_32 0
		.amdhsa_float_round_mode_16_64 0
		.amdhsa_float_denorm_mode_32 3
		.amdhsa_float_denorm_mode_16_64 3
		.amdhsa_dx10_clamp 1
		.amdhsa_ieee_mode 1
		.amdhsa_fp16_overflow 0
		.amdhsa_tg_split 0
		.amdhsa_exception_fp_ieee_invalid_op 0
		.amdhsa_exception_fp_denorm_src 0
		.amdhsa_exception_fp_ieee_div_zero 0
		.amdhsa_exception_fp_ieee_overflow 0
		.amdhsa_exception_fp_ieee_underflow 0
		.amdhsa_exception_fp_ieee_inexact 0
		.amdhsa_exception_int_div_zero 0
	.end_amdhsa_kernel
	.section	.text._ZN9rocsparseL18kernel_nrminf_diffILj512EfEEvmPKT0_S3_PNS_15floating_traitsIS1_E6data_tEPKS6_,"axG",@progbits,_ZN9rocsparseL18kernel_nrminf_diffILj512EfEEvmPKT0_S3_PNS_15floating_traitsIS1_E6data_tEPKS6_,comdat
.Lfunc_end86:
	.size	_ZN9rocsparseL18kernel_nrminf_diffILj512EfEEvmPKT0_S3_PNS_15floating_traitsIS1_E6data_tEPKS6_, .Lfunc_end86-_ZN9rocsparseL18kernel_nrminf_diffILj512EfEEvmPKT0_S3_PNS_15floating_traitsIS1_E6data_tEPKS6_
                                        ; -- End function
	.section	.AMDGPU.csdata,"",@progbits
; Kernel info:
; codeLenInByte = 1104
; NumSgprs: 20
; NumVgprs: 8
; NumAgprs: 0
; TotalNumVgprs: 8
; ScratchSize: 0
; MemoryBound: 0
; FloatMode: 240
; IeeeMode: 1
; LDSByteSize: 2048 bytes/workgroup (compile time only)
; SGPRBlocks: 2
; VGPRBlocks: 0
; NumSGPRsForWavesPerEU: 20
; NumVGPRsForWavesPerEU: 8
; AccumOffset: 8
; Occupancy: 8
; WaveLimiterHint : 0
; COMPUTE_PGM_RSRC2:SCRATCH_EN: 0
; COMPUTE_PGM_RSRC2:USER_SGPR: 6
; COMPUTE_PGM_RSRC2:TRAP_HANDLER: 0
; COMPUTE_PGM_RSRC2:TGID_X_EN: 1
; COMPUTE_PGM_RSRC2:TGID_Y_EN: 0
; COMPUTE_PGM_RSRC2:TGID_Z_EN: 0
; COMPUTE_PGM_RSRC2:TIDIG_COMP_CNT: 0
; COMPUTE_PGM_RSRC3_GFX90A:ACCUM_OFFSET: 1
; COMPUTE_PGM_RSRC3_GFX90A:TG_SPLIT: 0
	.section	.text._ZN9rocsparseL13kernel_nrminfILj512EfEEvmPKT0_PNS_15floating_traitsIS1_E6data_tEPKS6_,"axG",@progbits,_ZN9rocsparseL13kernel_nrminfILj512EfEEvmPKT0_PNS_15floating_traitsIS1_E6data_tEPKS6_,comdat
	.globl	_ZN9rocsparseL13kernel_nrminfILj512EfEEvmPKT0_PNS_15floating_traitsIS1_E6data_tEPKS6_ ; -- Begin function _ZN9rocsparseL13kernel_nrminfILj512EfEEvmPKT0_PNS_15floating_traitsIS1_E6data_tEPKS6_
	.p2align	8
	.type	_ZN9rocsparseL13kernel_nrminfILj512EfEEvmPKT0_PNS_15floating_traitsIS1_E6data_tEPKS6_,@function
_ZN9rocsparseL13kernel_nrminfILj512EfEEvmPKT0_PNS_15floating_traitsIS1_E6data_tEPKS6_: ; @_ZN9rocsparseL13kernel_nrminfILj512EfEEvmPKT0_PNS_15floating_traitsIS1_E6data_tEPKS6_
; %bb.0:
	s_load_dwordx2 s[0:1], s[4:5], 0x0
	v_lshl_or_b32 v2, s6, 9, v0
	v_mov_b32_e32 v3, 0
	s_waitcnt lgkmcnt(0)
	v_cmp_gt_u64_e32 vcc, s[0:1], v[2:3]
	s_and_saveexec_b64 s[0:1], vcc
	s_cbranch_execz .LBB87_2
; %bb.1:
	s_load_dwordx2 s[2:3], s[4:5], 0x8
	v_lshlrev_b64 v[2:3], 2, v[2:3]
	s_waitcnt lgkmcnt(0)
	v_mov_b32_e32 v1, s3
	v_add_co_u32_e32 v2, vcc, s2, v2
	v_addc_co_u32_e32 v3, vcc, v1, v3, vcc
	global_load_dword v1, v[2:3], off
	s_waitcnt vmcnt(0)
	v_and_b32_e32 v3, 0x7fffffff, v1
.LBB87_2:
	s_or_b64 exec, exec, s[0:1]
	s_movk_i32 s0, 0x100
	v_lshlrev_b32_e32 v1, 2, v0
	v_cmp_gt_u32_e32 vcc, s0, v0
	ds_write_b32 v1, v3
	s_waitcnt lgkmcnt(0)
	s_barrier
	s_and_saveexec_b64 s[0:1], vcc
	s_cbranch_execz .LBB87_4
; %bb.3:
	ds_read2st64_b32 v[2:3], v1 offset1:4
	s_waitcnt lgkmcnt(0)
	v_cmp_lt_f32_e32 vcc, v2, v3
	v_cndmask_b32_e32 v2, v2, v3, vcc
	ds_write_b32 v1, v2
.LBB87_4:
	s_or_b64 exec, exec, s[0:1]
	s_movk_i32 s0, 0x80
	v_cmp_gt_u32_e32 vcc, s0, v0
	s_waitcnt lgkmcnt(0)
	s_barrier
	s_and_saveexec_b64 s[0:1], vcc
	s_cbranch_execz .LBB87_6
; %bb.5:
	ds_read2st64_b32 v[2:3], v1 offset1:2
	s_waitcnt lgkmcnt(0)
	v_cmp_lt_f32_e32 vcc, v2, v3
	v_cndmask_b32_e32 v2, v2, v3, vcc
	ds_write_b32 v1, v2
.LBB87_6:
	s_or_b64 exec, exec, s[0:1]
	v_cmp_gt_u32_e32 vcc, 64, v0
	s_waitcnt lgkmcnt(0)
	s_barrier
	s_and_saveexec_b64 s[0:1], vcc
	s_cbranch_execz .LBB87_8
; %bb.7:
	ds_read2st64_b32 v[2:3], v1 offset1:1
	s_waitcnt lgkmcnt(0)
	v_cmp_lt_f32_e32 vcc, v2, v3
	v_cndmask_b32_e32 v2, v2, v3, vcc
	ds_write_b32 v1, v2
.LBB87_8:
	s_or_b64 exec, exec, s[0:1]
	v_cmp_gt_u32_e32 vcc, 32, v0
	s_waitcnt lgkmcnt(0)
	s_barrier
	s_and_saveexec_b64 s[0:1], vcc
	s_cbranch_execz .LBB87_10
; %bb.9:
	ds_read2_b32 v[2:3], v1 offset1:32
	s_waitcnt lgkmcnt(0)
	v_cmp_lt_f32_e32 vcc, v2, v3
	v_cndmask_b32_e32 v2, v2, v3, vcc
	ds_write_b32 v1, v2
.LBB87_10:
	s_or_b64 exec, exec, s[0:1]
	v_cmp_gt_u32_e32 vcc, 16, v0
	s_waitcnt lgkmcnt(0)
	s_barrier
	s_and_saveexec_b64 s[0:1], vcc
	s_cbranch_execz .LBB87_12
; %bb.11:
	ds_read2_b32 v[2:3], v1 offset1:16
	s_waitcnt lgkmcnt(0)
	v_cmp_lt_f32_e32 vcc, v2, v3
	v_cndmask_b32_e32 v2, v2, v3, vcc
	ds_write_b32 v1, v2
.LBB87_12:
	;; [unrolled: 13-line block ×5, first 2 shown]
	s_or_b64 exec, exec, s[0:1]
	v_cmp_eq_u32_e32 vcc, 0, v0
	s_waitcnt lgkmcnt(0)
	s_barrier
	s_and_saveexec_b64 s[2:3], vcc
	s_cbranch_execz .LBB87_20
; %bb.19:
	v_mov_b32_e32 v2, 0
	ds_read_b64 v[0:1], v2
	s_waitcnt lgkmcnt(0)
	v_cmp_lt_f32_e64 s[0:1], v0, v1
	v_cndmask_b32_e64 v0, v0, v1, s[0:1]
	ds_write_b32 v2, v0
.LBB87_20:
	s_or_b64 exec, exec, s[2:3]
	s_waitcnt lgkmcnt(0)
	s_barrier
	s_and_saveexec_b64 s[0:1], vcc
	s_cbranch_execz .LBB87_32
; %bb.21:
	s_load_dwordx4 s[4:7], s[4:5], 0x10
	v_mov_b32_e32 v1, 0
	ds_read_b32 v0, v1
	s_mov_b64 s[2:3], 0
	s_waitcnt lgkmcnt(0)
	s_cmp_eq_u64 s[6:7], 0
	s_cbranch_scc1 .LBB87_27
; %bb.22:
	s_load_dword s6, s[6:7], 0x0
	global_load_dword v3, v1, s[4:5] glc
                                        ; implicit-def: $sgpr10_sgpr11
	s_waitcnt lgkmcnt(0)
	v_div_scale_f32 v2, s[0:1], s6, s6, v0
	v_rcp_f32_e32 v4, v2
	v_div_scale_f32 v5, vcc, v0, s6, v0
	s_brev_b32 s0, 1
	v_fma_f32 v6, -v2, v4, 1.0
	v_fmac_f32_e32 v4, v6, v4
	v_mul_f32_e32 v6, v5, v4
	v_fma_f32 v7, -v2, v6, v5
	v_fmac_f32_e32 v6, v7, v4
	v_fma_f32 v2, -v2, v6, v5
	v_div_fmas_f32 v2, v2, v4, v6
	v_div_fixup_f32 v2, v2, s6, v0
	v_cmp_eq_f32_e32 vcc, 0, v2
                                        ; implicit-def: $sgpr6_sgpr7
	s_waitcnt vmcnt(0)
	v_cmp_eq_u32_e64 s[8:9], s0, v3
	s_branch .LBB87_24
.LBB87_23:                              ;   in Loop: Header=BB87_24 Depth=1
	s_or_b64 exec, exec, s[12:13]
	s_and_b64 s[0:1], exec, s[6:7]
	s_or_b64 s[2:3], s[0:1], s[2:3]
	s_andn2_b64 s[0:1], s[8:9], exec
	s_and_b64 s[8:9], s[10:11], exec
	s_or_b64 s[8:9], s[0:1], s[8:9]
	s_andn2_b64 exec, exec, s[2:3]
	s_cbranch_execz .LBB87_26
.LBB87_24:                              ; =>This Inner Loop Header: Depth=1
	v_cmp_lt_f32_e64 s[0:1], v3, v2
	s_and_b64 s[12:13], vcc, s[8:9]
	s_or_b64 s[0:1], s[0:1], s[12:13]
	s_andn2_b64 s[10:11], s[10:11], exec
	s_or_b64 s[6:7], s[6:7], exec
	s_and_saveexec_b64 s[12:13], s[0:1]
	s_cbranch_execz .LBB87_23
; %bb.25:                               ;   in Loop: Header=BB87_24 Depth=1
	global_atomic_cmpswap v4, v1, v[2:3], s[4:5] glc
	s_andn2_b64 s[10:11], s[10:11], exec
	s_andn2_b64 s[6:7], s[6:7], exec
                                        ; implicit-def: $sgpr8_sgpr9
	s_waitcnt vmcnt(0)
	v_cmp_eq_u32_e64 s[0:1], v4, v3
	v_cndmask_b32_e64 v3, v4, v3, s[0:1]
	v_cmp_class_f32_e64 s[14:15], v3, 32
	s_and_b64 s[0:1], s[0:1], exec
	s_and_b64 s[14:15], s[14:15], exec
	s_or_b64 s[6:7], s[6:7], s[0:1]
	s_or_b64 s[10:11], s[10:11], s[14:15]
	v_mov_b32_e32 v3, v4
	s_branch .LBB87_23
.LBB87_26:
	s_or_b64 exec, exec, s[2:3]
	s_branch .LBB87_32
.LBB87_27:
	s_cbranch_execz .LBB87_32
; %bb.28:
	v_mov_b32_e32 v2, 0
	global_load_dword v1, v2, s[4:5] glc
	s_brev_b32 s0, 1
	v_cmp_eq_f32_e32 vcc, 0, v0
	s_mov_b64 s[2:3], 0
                                        ; implicit-def: $sgpr6_sgpr7
                                        ; implicit-def: $sgpr10_sgpr11
	s_waitcnt vmcnt(0)
	v_cmp_eq_u32_e64 s[8:9], s0, v1
	s_branch .LBB87_30
.LBB87_29:                              ;   in Loop: Header=BB87_30 Depth=1
	s_or_b64 exec, exec, s[12:13]
	s_and_b64 s[0:1], exec, s[6:7]
	s_or_b64 s[2:3], s[0:1], s[2:3]
	s_andn2_b64 s[0:1], s[8:9], exec
	s_and_b64 s[8:9], s[10:11], exec
	s_or_b64 s[8:9], s[0:1], s[8:9]
	s_andn2_b64 exec, exec, s[2:3]
	s_cbranch_execz .LBB87_32
.LBB87_30:                              ; =>This Inner Loop Header: Depth=1
	v_cmp_lt_f32_e64 s[0:1], v1, v0
	s_and_b64 s[12:13], vcc, s[8:9]
	s_or_b64 s[0:1], s[0:1], s[12:13]
	s_andn2_b64 s[10:11], s[10:11], exec
	s_or_b64 s[6:7], s[6:7], exec
	s_and_saveexec_b64 s[12:13], s[0:1]
	s_cbranch_execz .LBB87_29
; %bb.31:                               ;   in Loop: Header=BB87_30 Depth=1
	global_atomic_cmpswap v3, v2, v[0:1], s[4:5] glc
	s_andn2_b64 s[10:11], s[10:11], exec
	s_andn2_b64 s[6:7], s[6:7], exec
                                        ; implicit-def: $sgpr8_sgpr9
	s_waitcnt vmcnt(0)
	v_cmp_eq_u32_e64 s[0:1], v3, v1
	v_cndmask_b32_e64 v1, v3, v1, s[0:1]
	v_cmp_class_f32_e64 s[14:15], v1, 32
	s_and_b64 s[0:1], s[0:1], exec
	s_and_b64 s[14:15], s[14:15], exec
	s_or_b64 s[6:7], s[6:7], s[0:1]
	s_or_b64 s[10:11], s[10:11], s[14:15]
	v_mov_b32_e32 v1, v3
	s_branch .LBB87_29
.LBB87_32:
	s_endpgm
	.section	.rodata,"a",@progbits
	.p2align	6, 0x0
	.amdhsa_kernel _ZN9rocsparseL13kernel_nrminfILj512EfEEvmPKT0_PNS_15floating_traitsIS1_E6data_tEPKS6_
		.amdhsa_group_segment_fixed_size 2048
		.amdhsa_private_segment_fixed_size 0
		.amdhsa_kernarg_size 32
		.amdhsa_user_sgpr_count 6
		.amdhsa_user_sgpr_private_segment_buffer 1
		.amdhsa_user_sgpr_dispatch_ptr 0
		.amdhsa_user_sgpr_queue_ptr 0
		.amdhsa_user_sgpr_kernarg_segment_ptr 1
		.amdhsa_user_sgpr_dispatch_id 0
		.amdhsa_user_sgpr_flat_scratch_init 0
		.amdhsa_user_sgpr_kernarg_preload_length 0
		.amdhsa_user_sgpr_kernarg_preload_offset 0
		.amdhsa_user_sgpr_private_segment_size 0
		.amdhsa_uses_dynamic_stack 0
		.amdhsa_system_sgpr_private_segment_wavefront_offset 0
		.amdhsa_system_sgpr_workgroup_id_x 1
		.amdhsa_system_sgpr_workgroup_id_y 0
		.amdhsa_system_sgpr_workgroup_id_z 0
		.amdhsa_system_sgpr_workgroup_info 0
		.amdhsa_system_vgpr_workitem_id 0
		.amdhsa_next_free_vgpr 8
		.amdhsa_next_free_sgpr 16
		.amdhsa_accum_offset 8
		.amdhsa_reserve_vcc 1
		.amdhsa_reserve_flat_scratch 0
		.amdhsa_float_round_mode_32 0
		.amdhsa_float_round_mode_16_64 0
		.amdhsa_float_denorm_mode_32 3
		.amdhsa_float_denorm_mode_16_64 3
		.amdhsa_dx10_clamp 1
		.amdhsa_ieee_mode 1
		.amdhsa_fp16_overflow 0
		.amdhsa_tg_split 0
		.amdhsa_exception_fp_ieee_invalid_op 0
		.amdhsa_exception_fp_denorm_src 0
		.amdhsa_exception_fp_ieee_div_zero 0
		.amdhsa_exception_fp_ieee_overflow 0
		.amdhsa_exception_fp_ieee_underflow 0
		.amdhsa_exception_fp_ieee_inexact 0
		.amdhsa_exception_int_div_zero 0
	.end_amdhsa_kernel
	.section	.text._ZN9rocsparseL13kernel_nrminfILj512EfEEvmPKT0_PNS_15floating_traitsIS1_E6data_tEPKS6_,"axG",@progbits,_ZN9rocsparseL13kernel_nrminfILj512EfEEvmPKT0_PNS_15floating_traitsIS1_E6data_tEPKS6_,comdat
.Lfunc_end87:
	.size	_ZN9rocsparseL13kernel_nrminfILj512EfEEvmPKT0_PNS_15floating_traitsIS1_E6data_tEPKS6_, .Lfunc_end87-_ZN9rocsparseL13kernel_nrminfILj512EfEEvmPKT0_PNS_15floating_traitsIS1_E6data_tEPKS6_
                                        ; -- End function
	.section	.AMDGPU.csdata,"",@progbits
; Kernel info:
; codeLenInByte = 1080
; NumSgprs: 20
; NumVgprs: 8
; NumAgprs: 0
; TotalNumVgprs: 8
; ScratchSize: 0
; MemoryBound: 0
; FloatMode: 240
; IeeeMode: 1
; LDSByteSize: 2048 bytes/workgroup (compile time only)
; SGPRBlocks: 2
; VGPRBlocks: 0
; NumSGPRsForWavesPerEU: 20
; NumVGPRsForWavesPerEU: 8
; AccumOffset: 8
; Occupancy: 8
; WaveLimiterHint : 0
; COMPUTE_PGM_RSRC2:SCRATCH_EN: 0
; COMPUTE_PGM_RSRC2:USER_SGPR: 6
; COMPUTE_PGM_RSRC2:TRAP_HANDLER: 0
; COMPUTE_PGM_RSRC2:TGID_X_EN: 1
; COMPUTE_PGM_RSRC2:TGID_Y_EN: 0
; COMPUTE_PGM_RSRC2:TGID_Z_EN: 0
; COMPUTE_PGM_RSRC2:TIDIG_COMP_CNT: 0
; COMPUTE_PGM_RSRC3_GFX90A:ACCUM_OFFSET: 1
; COMPUTE_PGM_RSRC3_GFX90A:TG_SPLIT: 0
	.section	.text._ZN9rocsparseL18kernel_nrminf_diffILj512EdEEvmPKT0_S3_PNS_15floating_traitsIS1_E6data_tEPKS6_,"axG",@progbits,_ZN9rocsparseL18kernel_nrminf_diffILj512EdEEvmPKT0_S3_PNS_15floating_traitsIS1_E6data_tEPKS6_,comdat
	.globl	_ZN9rocsparseL18kernel_nrminf_diffILj512EdEEvmPKT0_S3_PNS_15floating_traitsIS1_E6data_tEPKS6_ ; -- Begin function _ZN9rocsparseL18kernel_nrminf_diffILj512EdEEvmPKT0_S3_PNS_15floating_traitsIS1_E6data_tEPKS6_
	.p2align	8
	.type	_ZN9rocsparseL18kernel_nrminf_diffILj512EdEEvmPKT0_S3_PNS_15floating_traitsIS1_E6data_tEPKS6_,@function
_ZN9rocsparseL18kernel_nrminf_diffILj512EdEEvmPKT0_S3_PNS_15floating_traitsIS1_E6data_tEPKS6_: ; @_ZN9rocsparseL18kernel_nrminf_diffILj512EdEEvmPKT0_S3_PNS_15floating_traitsIS1_E6data_tEPKS6_
; %bb.0:
	s_load_dwordx2 s[0:1], s[4:5], 0x0
	v_mov_b32_e32 v3, 0
	v_lshl_or_b32 v2, s6, 9, v0
	v_pk_mov_b32 v[4:5], 0, 0
	s_waitcnt lgkmcnt(0)
	v_cmp_gt_u64_e32 vcc, s[0:1], v[2:3]
	s_and_saveexec_b64 s[0:1], vcc
	s_cbranch_execz .LBB88_2
; %bb.1:
	s_load_dwordx4 s[8:11], s[4:5], 0x8
	v_lshlrev_b64 v[2:3], 3, v[2:3]
	s_waitcnt lgkmcnt(0)
	v_mov_b32_e32 v1, s11
	v_add_co_u32_e32 v4, vcc, s10, v2
	v_addc_co_u32_e32 v5, vcc, v1, v3, vcc
	v_mov_b32_e32 v1, s9
	v_add_co_u32_e32 v2, vcc, s8, v2
	v_addc_co_u32_e32 v3, vcc, v1, v3, vcc
	global_load_dwordx2 v[6:7], v[2:3], off
	global_load_dwordx2 v[8:9], v[4:5], off
	s_waitcnt vmcnt(0)
	v_add_f64 v[4:5], v[6:7], -v[8:9]
	v_and_b32_e32 v5, 0x7fffffff, v5
.LBB88_2:
	s_or_b64 exec, exec, s[0:1]
	s_movk_i32 s0, 0x100
	v_lshlrev_b32_e32 v1, 3, v0
	v_cmp_gt_u32_e32 vcc, s0, v0
	ds_write_b64 v1, v[4:5]
	s_waitcnt lgkmcnt(0)
	s_barrier
	s_and_saveexec_b64 s[0:1], vcc
	s_cbranch_execz .LBB88_4
; %bb.3:
	ds_read2st64_b64 v[2:5], v1 offset1:4
	s_waitcnt lgkmcnt(0)
	v_cmp_lt_f64_e32 vcc, v[2:3], v[4:5]
	v_cndmask_b32_e32 v3, v3, v5, vcc
	v_cndmask_b32_e32 v2, v2, v4, vcc
	ds_write_b64 v1, v[2:3]
.LBB88_4:
	s_or_b64 exec, exec, s[0:1]
	s_movk_i32 s0, 0x80
	v_cmp_gt_u32_e32 vcc, s0, v0
	s_waitcnt lgkmcnt(0)
	s_barrier
	s_and_saveexec_b64 s[0:1], vcc
	s_cbranch_execz .LBB88_6
; %bb.5:
	ds_read2st64_b64 v[2:5], v1 offset1:2
	s_waitcnt lgkmcnt(0)
	v_cmp_lt_f64_e32 vcc, v[2:3], v[4:5]
	v_cndmask_b32_e32 v3, v3, v5, vcc
	v_cndmask_b32_e32 v2, v2, v4, vcc
	ds_write_b64 v1, v[2:3]
.LBB88_6:
	s_or_b64 exec, exec, s[0:1]
	v_cmp_gt_u32_e32 vcc, 64, v0
	s_waitcnt lgkmcnt(0)
	s_barrier
	s_and_saveexec_b64 s[0:1], vcc
	s_cbranch_execz .LBB88_8
; %bb.7:
	ds_read2st64_b64 v[2:5], v1 offset1:1
	s_waitcnt lgkmcnt(0)
	v_cmp_lt_f64_e32 vcc, v[2:3], v[4:5]
	v_cndmask_b32_e32 v3, v3, v5, vcc
	v_cndmask_b32_e32 v2, v2, v4, vcc
	ds_write_b64 v1, v[2:3]
.LBB88_8:
	s_or_b64 exec, exec, s[0:1]
	v_cmp_gt_u32_e32 vcc, 32, v0
	s_waitcnt lgkmcnt(0)
	s_barrier
	s_and_saveexec_b64 s[0:1], vcc
	s_cbranch_execz .LBB88_10
; %bb.9:
	ds_read2_b64 v[2:5], v1 offset1:32
	s_waitcnt lgkmcnt(0)
	v_cmp_lt_f64_e32 vcc, v[2:3], v[4:5]
	v_cndmask_b32_e32 v3, v3, v5, vcc
	v_cndmask_b32_e32 v2, v2, v4, vcc
	ds_write_b64 v1, v[2:3]
.LBB88_10:
	s_or_b64 exec, exec, s[0:1]
	v_cmp_gt_u32_e32 vcc, 16, v0
	s_waitcnt lgkmcnt(0)
	s_barrier
	s_and_saveexec_b64 s[0:1], vcc
	s_cbranch_execz .LBB88_12
; %bb.11:
	ds_read2_b64 v[2:5], v1 offset1:16
	s_waitcnt lgkmcnt(0)
	v_cmp_lt_f64_e32 vcc, v[2:3], v[4:5]
	v_cndmask_b32_e32 v3, v3, v5, vcc
	v_cndmask_b32_e32 v2, v2, v4, vcc
	ds_write_b64 v1, v[2:3]
.LBB88_12:
	s_or_b64 exec, exec, s[0:1]
	v_cmp_gt_u32_e32 vcc, 8, v0
	s_waitcnt lgkmcnt(0)
	s_barrier
	s_and_saveexec_b64 s[0:1], vcc
	s_cbranch_execz .LBB88_14
; %bb.13:
	ds_read2_b64 v[2:5], v1 offset1:8
	s_waitcnt lgkmcnt(0)
	v_cmp_lt_f64_e32 vcc, v[2:3], v[4:5]
	v_cndmask_b32_e32 v3, v3, v5, vcc
	v_cndmask_b32_e32 v2, v2, v4, vcc
	ds_write_b64 v1, v[2:3]
.LBB88_14:
	s_or_b64 exec, exec, s[0:1]
	v_cmp_gt_u32_e32 vcc, 4, v0
	s_waitcnt lgkmcnt(0)
	s_barrier
	s_and_saveexec_b64 s[0:1], vcc
	s_cbranch_execz .LBB88_16
; %bb.15:
	ds_read2_b64 v[2:5], v1 offset1:4
	s_waitcnt lgkmcnt(0)
	v_cmp_lt_f64_e32 vcc, v[2:3], v[4:5]
	v_cndmask_b32_e32 v3, v3, v5, vcc
	v_cndmask_b32_e32 v2, v2, v4, vcc
	ds_write_b64 v1, v[2:3]
.LBB88_16:
	s_or_b64 exec, exec, s[0:1]
	v_cmp_gt_u32_e32 vcc, 2, v0
	s_waitcnt lgkmcnt(0)
	s_barrier
	s_and_saveexec_b64 s[0:1], vcc
	s_cbranch_execz .LBB88_18
; %bb.17:
	ds_read2_b64 v[2:5], v1 offset1:2
	s_waitcnt lgkmcnt(0)
	v_cmp_lt_f64_e32 vcc, v[2:3], v[4:5]
	v_cndmask_b32_e32 v3, v3, v5, vcc
	v_cndmask_b32_e32 v2, v2, v4, vcc
	ds_write_b64 v1, v[2:3]
.LBB88_18:
	s_or_b64 exec, exec, s[0:1]
	v_cmp_eq_u32_e32 vcc, 0, v0
	s_waitcnt lgkmcnt(0)
	s_barrier
	s_and_saveexec_b64 s[2:3], vcc
	s_cbranch_execz .LBB88_20
; %bb.19:
	v_mov_b32_e32 v4, 0
	ds_read_b128 v[0:3], v4
	s_waitcnt lgkmcnt(0)
	v_cmp_lt_f64_e64 s[0:1], v[0:1], v[2:3]
	v_cndmask_b32_e64 v1, v1, v3, s[0:1]
	v_cndmask_b32_e64 v0, v0, v2, s[0:1]
	ds_write_b64 v4, v[0:1]
.LBB88_20:
	s_or_b64 exec, exec, s[2:3]
	s_waitcnt lgkmcnt(0)
	s_barrier
	s_and_saveexec_b64 s[0:1], vcc
	s_cbranch_execz .LBB88_32
; %bb.21:
	s_load_dwordx4 s[4:7], s[4:5], 0x18
	v_mov_b32_e32 v6, 0
	ds_read_b64 v[0:1], v6
	s_mov_b64 s[2:3], 0
	s_waitcnt lgkmcnt(0)
	s_cmp_eq_u64 s[6:7], 0
	s_cbranch_scc1 .LBB88_27
; %bb.22:
	s_load_dwordx2 s[0:1], s[6:7], 0x0
	global_load_dwordx2 v[4:5], v6, s[4:5] glc
                                        ; implicit-def: $sgpr8_sgpr9
	s_waitcnt lgkmcnt(0)
	v_div_scale_f64 v[2:3], s[6:7], s[0:1], s[0:1], v[0:1]
	v_rcp_f64_e32 v[8:9], v[2:3]
	v_div_scale_f64 v[10:11], vcc, v[0:1], s[0:1], v[0:1]
	s_mov_b32 s6, 0
	v_fma_f64 v[12:13], -v[2:3], v[8:9], 1.0
	v_fmac_f64_e32 v[8:9], v[8:9], v[12:13]
	v_fma_f64 v[12:13], -v[2:3], v[8:9], 1.0
	v_fmac_f64_e32 v[8:9], v[8:9], v[12:13]
	v_mul_f64 v[12:13], v[10:11], v[8:9]
	v_fma_f64 v[2:3], -v[2:3], v[12:13], v[10:11]
	v_div_fmas_f64 v[2:3], v[2:3], v[8:9], v[12:13]
	s_brev_b32 s7, 1
	v_div_fixup_f64 v[2:3], v[2:3], s[0:1], v[0:1]
	v_cmp_eq_f64_e32 vcc, 0, v[2:3]
	s_waitcnt vmcnt(0)
	v_cmp_eq_u64_e64 s[10:11], s[6:7], v[4:5]
                                        ; implicit-def: $sgpr6_sgpr7
	s_branch .LBB88_24
.LBB88_23:                              ;   in Loop: Header=BB88_24 Depth=1
	s_or_b64 exec, exec, s[12:13]
	s_and_b64 s[0:1], exec, s[6:7]
	s_or_b64 s[2:3], s[0:1], s[2:3]
	s_andn2_b64 s[0:1], s[10:11], exec
	s_and_b64 s[10:11], s[8:9], exec
	s_or_b64 s[10:11], s[0:1], s[10:11]
	s_andn2_b64 exec, exec, s[2:3]
	s_cbranch_execz .LBB88_26
.LBB88_24:                              ; =>This Inner Loop Header: Depth=1
	v_cmp_lt_f64_e64 s[0:1], v[4:5], v[2:3]
	s_and_b64 s[12:13], vcc, s[10:11]
	s_or_b64 s[0:1], s[0:1], s[12:13]
	s_andn2_b64 s[8:9], s[8:9], exec
	s_or_b64 s[6:7], s[6:7], exec
	s_and_saveexec_b64 s[12:13], s[0:1]
	s_cbranch_execz .LBB88_23
; %bb.25:                               ;   in Loop: Header=BB88_24 Depth=1
	global_atomic_cmpswap_x2 v[8:9], v6, v[2:5], s[4:5] glc
	s_andn2_b64 s[6:7], s[6:7], exec
	s_andn2_b64 s[8:9], s[8:9], exec
                                        ; implicit-def: $sgpr10_sgpr11
	s_waitcnt vmcnt(0)
	v_cmp_eq_u64_e64 s[0:1], v[8:9], v[4:5]
	v_cndmask_b32_e64 v5, v9, v5, s[0:1]
	v_cndmask_b32_e64 v4, v8, v4, s[0:1]
	s_and_b64 s[0:1], s[0:1], exec
	v_cmp_class_f64_e64 s[14:15], v[4:5], 32
	s_or_b64 s[6:7], s[6:7], s[0:1]
	s_and_b64 s[0:1], s[14:15], exec
	s_or_b64 s[8:9], s[8:9], s[0:1]
	v_pk_mov_b32 v[4:5], v[8:9], v[8:9] op_sel:[0,1]
	s_branch .LBB88_23
.LBB88_26:
	s_or_b64 exec, exec, s[2:3]
	s_branch .LBB88_32
.LBB88_27:
	s_cbranch_execz .LBB88_32
; %bb.28:
	v_mov_b32_e32 v4, 0
	global_load_dwordx2 v[2:3], v4, s[4:5] glc
	s_mov_b32 s0, 0
	s_brev_b32 s1, 1
	s_mov_b64 s[2:3], 0
	v_cmp_eq_f64_e32 vcc, 0, v[0:1]
                                        ; implicit-def: $sgpr6_sgpr7
                                        ; implicit-def: $sgpr8_sgpr9
	s_waitcnt vmcnt(0)
	v_cmp_eq_u64_e64 s[10:11], s[0:1], v[2:3]
	s_branch .LBB88_30
.LBB88_29:                              ;   in Loop: Header=BB88_30 Depth=1
	s_or_b64 exec, exec, s[12:13]
	s_and_b64 s[0:1], exec, s[6:7]
	s_or_b64 s[2:3], s[0:1], s[2:3]
	s_andn2_b64 s[0:1], s[10:11], exec
	s_and_b64 s[10:11], s[8:9], exec
	s_or_b64 s[10:11], s[0:1], s[10:11]
	s_andn2_b64 exec, exec, s[2:3]
	s_cbranch_execz .LBB88_32
.LBB88_30:                              ; =>This Inner Loop Header: Depth=1
	v_cmp_lt_f64_e64 s[0:1], v[2:3], v[0:1]
	s_and_b64 s[12:13], vcc, s[10:11]
	s_or_b64 s[0:1], s[0:1], s[12:13]
	s_andn2_b64 s[8:9], s[8:9], exec
	s_or_b64 s[6:7], s[6:7], exec
	s_and_saveexec_b64 s[12:13], s[0:1]
	s_cbranch_execz .LBB88_29
; %bb.31:                               ;   in Loop: Header=BB88_30 Depth=1
	global_atomic_cmpswap_x2 v[6:7], v4, v[0:3], s[4:5] glc
	s_andn2_b64 s[6:7], s[6:7], exec
	s_andn2_b64 s[8:9], s[8:9], exec
                                        ; implicit-def: $sgpr10_sgpr11
	s_waitcnt vmcnt(0)
	v_cmp_eq_u64_e64 s[0:1], v[6:7], v[2:3]
	v_cndmask_b32_e64 v3, v7, v3, s[0:1]
	v_cndmask_b32_e64 v2, v6, v2, s[0:1]
	s_and_b64 s[0:1], s[0:1], exec
	v_cmp_class_f64_e64 s[14:15], v[2:3], 32
	s_or_b64 s[6:7], s[6:7], s[0:1]
	s_and_b64 s[0:1], s[14:15], exec
	s_or_b64 s[8:9], s[8:9], s[0:1]
	v_pk_mov_b32 v[2:3], v[6:7], v[6:7] op_sel:[0,1]
	s_branch .LBB88_29
.LBB88_32:
	s_endpgm
	.section	.rodata,"a",@progbits
	.p2align	6, 0x0
	.amdhsa_kernel _ZN9rocsparseL18kernel_nrminf_diffILj512EdEEvmPKT0_S3_PNS_15floating_traitsIS1_E6data_tEPKS6_
		.amdhsa_group_segment_fixed_size 4096
		.amdhsa_private_segment_fixed_size 0
		.amdhsa_kernarg_size 40
		.amdhsa_user_sgpr_count 6
		.amdhsa_user_sgpr_private_segment_buffer 1
		.amdhsa_user_sgpr_dispatch_ptr 0
		.amdhsa_user_sgpr_queue_ptr 0
		.amdhsa_user_sgpr_kernarg_segment_ptr 1
		.amdhsa_user_sgpr_dispatch_id 0
		.amdhsa_user_sgpr_flat_scratch_init 0
		.amdhsa_user_sgpr_kernarg_preload_length 0
		.amdhsa_user_sgpr_kernarg_preload_offset 0
		.amdhsa_user_sgpr_private_segment_size 0
		.amdhsa_uses_dynamic_stack 0
		.amdhsa_system_sgpr_private_segment_wavefront_offset 0
		.amdhsa_system_sgpr_workgroup_id_x 1
		.amdhsa_system_sgpr_workgroup_id_y 0
		.amdhsa_system_sgpr_workgroup_id_z 0
		.amdhsa_system_sgpr_workgroup_info 0
		.amdhsa_system_vgpr_workitem_id 0
		.amdhsa_next_free_vgpr 14
		.amdhsa_next_free_sgpr 16
		.amdhsa_accum_offset 16
		.amdhsa_reserve_vcc 1
		.amdhsa_reserve_flat_scratch 0
		.amdhsa_float_round_mode_32 0
		.amdhsa_float_round_mode_16_64 0
		.amdhsa_float_denorm_mode_32 3
		.amdhsa_float_denorm_mode_16_64 3
		.amdhsa_dx10_clamp 1
		.amdhsa_ieee_mode 1
		.amdhsa_fp16_overflow 0
		.amdhsa_tg_split 0
		.amdhsa_exception_fp_ieee_invalid_op 0
		.amdhsa_exception_fp_denorm_src 0
		.amdhsa_exception_fp_ieee_div_zero 0
		.amdhsa_exception_fp_ieee_overflow 0
		.amdhsa_exception_fp_ieee_underflow 0
		.amdhsa_exception_fp_ieee_inexact 0
		.amdhsa_exception_int_div_zero 0
	.end_amdhsa_kernel
	.section	.text._ZN9rocsparseL18kernel_nrminf_diffILj512EdEEvmPKT0_S3_PNS_15floating_traitsIS1_E6data_tEPKS6_,"axG",@progbits,_ZN9rocsparseL18kernel_nrminf_diffILj512EdEEvmPKT0_S3_PNS_15floating_traitsIS1_E6data_tEPKS6_,comdat
.Lfunc_end88:
	.size	_ZN9rocsparseL18kernel_nrminf_diffILj512EdEEvmPKT0_S3_PNS_15floating_traitsIS1_E6data_tEPKS6_, .Lfunc_end88-_ZN9rocsparseL18kernel_nrminf_diffILj512EdEEvmPKT0_S3_PNS_15floating_traitsIS1_E6data_tEPKS6_
                                        ; -- End function
	.section	.AMDGPU.csdata,"",@progbits
; Kernel info:
; codeLenInByte = 1192
; NumSgprs: 20
; NumVgprs: 14
; NumAgprs: 0
; TotalNumVgprs: 14
; ScratchSize: 0
; MemoryBound: 1
; FloatMode: 240
; IeeeMode: 1
; LDSByteSize: 4096 bytes/workgroup (compile time only)
; SGPRBlocks: 2
; VGPRBlocks: 1
; NumSGPRsForWavesPerEU: 20
; NumVGPRsForWavesPerEU: 14
; AccumOffset: 16
; Occupancy: 8
; WaveLimiterHint : 0
; COMPUTE_PGM_RSRC2:SCRATCH_EN: 0
; COMPUTE_PGM_RSRC2:USER_SGPR: 6
; COMPUTE_PGM_RSRC2:TRAP_HANDLER: 0
; COMPUTE_PGM_RSRC2:TGID_X_EN: 1
; COMPUTE_PGM_RSRC2:TGID_Y_EN: 0
; COMPUTE_PGM_RSRC2:TGID_Z_EN: 0
; COMPUTE_PGM_RSRC2:TIDIG_COMP_CNT: 0
; COMPUTE_PGM_RSRC3_GFX90A:ACCUM_OFFSET: 3
; COMPUTE_PGM_RSRC3_GFX90A:TG_SPLIT: 0
	.section	.text._ZN9rocsparseL13kernel_nrminfILj512EdEEvmPKT0_PNS_15floating_traitsIS1_E6data_tEPKS6_,"axG",@progbits,_ZN9rocsparseL13kernel_nrminfILj512EdEEvmPKT0_PNS_15floating_traitsIS1_E6data_tEPKS6_,comdat
	.globl	_ZN9rocsparseL13kernel_nrminfILj512EdEEvmPKT0_PNS_15floating_traitsIS1_E6data_tEPKS6_ ; -- Begin function _ZN9rocsparseL13kernel_nrminfILj512EdEEvmPKT0_PNS_15floating_traitsIS1_E6data_tEPKS6_
	.p2align	8
	.type	_ZN9rocsparseL13kernel_nrminfILj512EdEEvmPKT0_PNS_15floating_traitsIS1_E6data_tEPKS6_,@function
_ZN9rocsparseL13kernel_nrminfILj512EdEEvmPKT0_PNS_15floating_traitsIS1_E6data_tEPKS6_: ; @_ZN9rocsparseL13kernel_nrminfILj512EdEEvmPKT0_PNS_15floating_traitsIS1_E6data_tEPKS6_
; %bb.0:
	s_load_dwordx2 s[0:1], s[4:5], 0x0
	v_mov_b32_e32 v5, 0
	v_lshl_or_b32 v4, s6, 9, v0
	v_pk_mov_b32 v[2:3], 0, 0
	s_waitcnt lgkmcnt(0)
	v_cmp_gt_u64_e32 vcc, s[0:1], v[4:5]
	s_and_saveexec_b64 s[0:1], vcc
	s_cbranch_execz .LBB89_2
; %bb.1:
	s_load_dwordx2 s[2:3], s[4:5], 0x8
	v_lshlrev_b64 v[2:3], 3, v[4:5]
	s_waitcnt lgkmcnt(0)
	v_mov_b32_e32 v1, s3
	v_add_co_u32_e32 v2, vcc, s2, v2
	v_addc_co_u32_e32 v3, vcc, v1, v3, vcc
	global_load_dwordx2 v[2:3], v[2:3], off
	s_waitcnt vmcnt(0)
	v_and_b32_e32 v3, 0x7fffffff, v3
.LBB89_2:
	s_or_b64 exec, exec, s[0:1]
	s_movk_i32 s0, 0x100
	v_lshlrev_b32_e32 v1, 3, v0
	v_cmp_gt_u32_e32 vcc, s0, v0
	ds_write_b64 v1, v[2:3]
	s_waitcnt lgkmcnt(0)
	s_barrier
	s_and_saveexec_b64 s[0:1], vcc
	s_cbranch_execz .LBB89_4
; %bb.3:
	ds_read2st64_b64 v[2:5], v1 offset1:4
	s_waitcnt lgkmcnt(0)
	v_cmp_lt_f64_e32 vcc, v[2:3], v[4:5]
	v_cndmask_b32_e32 v3, v3, v5, vcc
	v_cndmask_b32_e32 v2, v2, v4, vcc
	ds_write_b64 v1, v[2:3]
.LBB89_4:
	s_or_b64 exec, exec, s[0:1]
	s_movk_i32 s0, 0x80
	v_cmp_gt_u32_e32 vcc, s0, v0
	s_waitcnt lgkmcnt(0)
	s_barrier
	s_and_saveexec_b64 s[0:1], vcc
	s_cbranch_execz .LBB89_6
; %bb.5:
	ds_read2st64_b64 v[2:5], v1 offset1:2
	s_waitcnt lgkmcnt(0)
	v_cmp_lt_f64_e32 vcc, v[2:3], v[4:5]
	v_cndmask_b32_e32 v3, v3, v5, vcc
	v_cndmask_b32_e32 v2, v2, v4, vcc
	ds_write_b64 v1, v[2:3]
.LBB89_6:
	s_or_b64 exec, exec, s[0:1]
	v_cmp_gt_u32_e32 vcc, 64, v0
	s_waitcnt lgkmcnt(0)
	s_barrier
	s_and_saveexec_b64 s[0:1], vcc
	s_cbranch_execz .LBB89_8
; %bb.7:
	ds_read2st64_b64 v[2:5], v1 offset1:1
	s_waitcnt lgkmcnt(0)
	v_cmp_lt_f64_e32 vcc, v[2:3], v[4:5]
	v_cndmask_b32_e32 v3, v3, v5, vcc
	v_cndmask_b32_e32 v2, v2, v4, vcc
	ds_write_b64 v1, v[2:3]
.LBB89_8:
	s_or_b64 exec, exec, s[0:1]
	v_cmp_gt_u32_e32 vcc, 32, v0
	s_waitcnt lgkmcnt(0)
	s_barrier
	s_and_saveexec_b64 s[0:1], vcc
	s_cbranch_execz .LBB89_10
; %bb.9:
	ds_read2_b64 v[2:5], v1 offset1:32
	s_waitcnt lgkmcnt(0)
	v_cmp_lt_f64_e32 vcc, v[2:3], v[4:5]
	v_cndmask_b32_e32 v3, v3, v5, vcc
	v_cndmask_b32_e32 v2, v2, v4, vcc
	ds_write_b64 v1, v[2:3]
.LBB89_10:
	s_or_b64 exec, exec, s[0:1]
	v_cmp_gt_u32_e32 vcc, 16, v0
	s_waitcnt lgkmcnt(0)
	s_barrier
	s_and_saveexec_b64 s[0:1], vcc
	s_cbranch_execz .LBB89_12
; %bb.11:
	ds_read2_b64 v[2:5], v1 offset1:16
	s_waitcnt lgkmcnt(0)
	v_cmp_lt_f64_e32 vcc, v[2:3], v[4:5]
	v_cndmask_b32_e32 v3, v3, v5, vcc
	v_cndmask_b32_e32 v2, v2, v4, vcc
	ds_write_b64 v1, v[2:3]
.LBB89_12:
	;; [unrolled: 14-line block ×5, first 2 shown]
	s_or_b64 exec, exec, s[0:1]
	v_cmp_eq_u32_e32 vcc, 0, v0
	s_waitcnt lgkmcnt(0)
	s_barrier
	s_and_saveexec_b64 s[2:3], vcc
	s_cbranch_execz .LBB89_20
; %bb.19:
	v_mov_b32_e32 v4, 0
	ds_read_b128 v[0:3], v4
	s_waitcnt lgkmcnt(0)
	v_cmp_lt_f64_e64 s[0:1], v[0:1], v[2:3]
	v_cndmask_b32_e64 v1, v1, v3, s[0:1]
	v_cndmask_b32_e64 v0, v0, v2, s[0:1]
	ds_write_b64 v4, v[0:1]
.LBB89_20:
	s_or_b64 exec, exec, s[2:3]
	s_waitcnt lgkmcnt(0)
	s_barrier
	s_and_saveexec_b64 s[0:1], vcc
	s_cbranch_execz .LBB89_32
; %bb.21:
	s_load_dwordx4 s[4:7], s[4:5], 0x10
	v_mov_b32_e32 v6, 0
	ds_read_b64 v[0:1], v6
	s_mov_b64 s[2:3], 0
	s_waitcnt lgkmcnt(0)
	s_cmp_eq_u64 s[6:7], 0
	s_cbranch_scc1 .LBB89_27
; %bb.22:
	s_load_dwordx2 s[0:1], s[6:7], 0x0
	global_load_dwordx2 v[4:5], v6, s[4:5] glc
                                        ; implicit-def: $sgpr8_sgpr9
	s_waitcnt lgkmcnt(0)
	v_div_scale_f64 v[2:3], s[6:7], s[0:1], s[0:1], v[0:1]
	v_rcp_f64_e32 v[8:9], v[2:3]
	v_div_scale_f64 v[10:11], vcc, v[0:1], s[0:1], v[0:1]
	s_mov_b32 s6, 0
	v_fma_f64 v[12:13], -v[2:3], v[8:9], 1.0
	v_fmac_f64_e32 v[8:9], v[8:9], v[12:13]
	v_fma_f64 v[12:13], -v[2:3], v[8:9], 1.0
	v_fmac_f64_e32 v[8:9], v[8:9], v[12:13]
	v_mul_f64 v[12:13], v[10:11], v[8:9]
	v_fma_f64 v[2:3], -v[2:3], v[12:13], v[10:11]
	v_div_fmas_f64 v[2:3], v[2:3], v[8:9], v[12:13]
	s_brev_b32 s7, 1
	v_div_fixup_f64 v[2:3], v[2:3], s[0:1], v[0:1]
	v_cmp_eq_f64_e32 vcc, 0, v[2:3]
	s_waitcnt vmcnt(0)
	v_cmp_eq_u64_e64 s[10:11], s[6:7], v[4:5]
                                        ; implicit-def: $sgpr6_sgpr7
	s_branch .LBB89_24
.LBB89_23:                              ;   in Loop: Header=BB89_24 Depth=1
	s_or_b64 exec, exec, s[12:13]
	s_and_b64 s[0:1], exec, s[6:7]
	s_or_b64 s[2:3], s[0:1], s[2:3]
	s_andn2_b64 s[0:1], s[10:11], exec
	s_and_b64 s[10:11], s[8:9], exec
	s_or_b64 s[10:11], s[0:1], s[10:11]
	s_andn2_b64 exec, exec, s[2:3]
	s_cbranch_execz .LBB89_26
.LBB89_24:                              ; =>This Inner Loop Header: Depth=1
	v_cmp_lt_f64_e64 s[0:1], v[4:5], v[2:3]
	s_and_b64 s[12:13], vcc, s[10:11]
	s_or_b64 s[0:1], s[0:1], s[12:13]
	s_andn2_b64 s[8:9], s[8:9], exec
	s_or_b64 s[6:7], s[6:7], exec
	s_and_saveexec_b64 s[12:13], s[0:1]
	s_cbranch_execz .LBB89_23
; %bb.25:                               ;   in Loop: Header=BB89_24 Depth=1
	global_atomic_cmpswap_x2 v[8:9], v6, v[2:5], s[4:5] glc
	s_andn2_b64 s[6:7], s[6:7], exec
	s_andn2_b64 s[8:9], s[8:9], exec
                                        ; implicit-def: $sgpr10_sgpr11
	s_waitcnt vmcnt(0)
	v_cmp_eq_u64_e64 s[0:1], v[8:9], v[4:5]
	v_cndmask_b32_e64 v5, v9, v5, s[0:1]
	v_cndmask_b32_e64 v4, v8, v4, s[0:1]
	s_and_b64 s[0:1], s[0:1], exec
	v_cmp_class_f64_e64 s[14:15], v[4:5], 32
	s_or_b64 s[6:7], s[6:7], s[0:1]
	s_and_b64 s[0:1], s[14:15], exec
	s_or_b64 s[8:9], s[8:9], s[0:1]
	v_pk_mov_b32 v[4:5], v[8:9], v[8:9] op_sel:[0,1]
	s_branch .LBB89_23
.LBB89_26:
	s_or_b64 exec, exec, s[2:3]
	s_branch .LBB89_32
.LBB89_27:
	s_cbranch_execz .LBB89_32
; %bb.28:
	v_mov_b32_e32 v4, 0
	global_load_dwordx2 v[2:3], v4, s[4:5] glc
	s_mov_b32 s0, 0
	s_brev_b32 s1, 1
	s_mov_b64 s[2:3], 0
	v_cmp_eq_f64_e32 vcc, 0, v[0:1]
                                        ; implicit-def: $sgpr6_sgpr7
                                        ; implicit-def: $sgpr8_sgpr9
	s_waitcnt vmcnt(0)
	v_cmp_eq_u64_e64 s[10:11], s[0:1], v[2:3]
	s_branch .LBB89_30
.LBB89_29:                              ;   in Loop: Header=BB89_30 Depth=1
	s_or_b64 exec, exec, s[12:13]
	s_and_b64 s[0:1], exec, s[6:7]
	s_or_b64 s[2:3], s[0:1], s[2:3]
	s_andn2_b64 s[0:1], s[10:11], exec
	s_and_b64 s[10:11], s[8:9], exec
	s_or_b64 s[10:11], s[0:1], s[10:11]
	s_andn2_b64 exec, exec, s[2:3]
	s_cbranch_execz .LBB89_32
.LBB89_30:                              ; =>This Inner Loop Header: Depth=1
	v_cmp_lt_f64_e64 s[0:1], v[2:3], v[0:1]
	s_and_b64 s[12:13], vcc, s[10:11]
	s_or_b64 s[0:1], s[0:1], s[12:13]
	s_andn2_b64 s[8:9], s[8:9], exec
	s_or_b64 s[6:7], s[6:7], exec
	s_and_saveexec_b64 s[12:13], s[0:1]
	s_cbranch_execz .LBB89_29
; %bb.31:                               ;   in Loop: Header=BB89_30 Depth=1
	global_atomic_cmpswap_x2 v[6:7], v4, v[0:3], s[4:5] glc
	s_andn2_b64 s[6:7], s[6:7], exec
	s_andn2_b64 s[8:9], s[8:9], exec
                                        ; implicit-def: $sgpr10_sgpr11
	s_waitcnt vmcnt(0)
	v_cmp_eq_u64_e64 s[0:1], v[6:7], v[2:3]
	v_cndmask_b32_e64 v3, v7, v3, s[0:1]
	v_cndmask_b32_e64 v2, v6, v2, s[0:1]
	s_and_b64 s[0:1], s[0:1], exec
	v_cmp_class_f64_e64 s[14:15], v[2:3], 32
	s_or_b64 s[6:7], s[6:7], s[0:1]
	s_and_b64 s[0:1], s[14:15], exec
	s_or_b64 s[8:9], s[8:9], s[0:1]
	v_pk_mov_b32 v[2:3], v[6:7], v[6:7] op_sel:[0,1]
	s_branch .LBB89_29
.LBB89_32:
	s_endpgm
	.section	.rodata,"a",@progbits
	.p2align	6, 0x0
	.amdhsa_kernel _ZN9rocsparseL13kernel_nrminfILj512EdEEvmPKT0_PNS_15floating_traitsIS1_E6data_tEPKS6_
		.amdhsa_group_segment_fixed_size 4096
		.amdhsa_private_segment_fixed_size 0
		.amdhsa_kernarg_size 32
		.amdhsa_user_sgpr_count 6
		.amdhsa_user_sgpr_private_segment_buffer 1
		.amdhsa_user_sgpr_dispatch_ptr 0
		.amdhsa_user_sgpr_queue_ptr 0
		.amdhsa_user_sgpr_kernarg_segment_ptr 1
		.amdhsa_user_sgpr_dispatch_id 0
		.amdhsa_user_sgpr_flat_scratch_init 0
		.amdhsa_user_sgpr_kernarg_preload_length 0
		.amdhsa_user_sgpr_kernarg_preload_offset 0
		.amdhsa_user_sgpr_private_segment_size 0
		.amdhsa_uses_dynamic_stack 0
		.amdhsa_system_sgpr_private_segment_wavefront_offset 0
		.amdhsa_system_sgpr_workgroup_id_x 1
		.amdhsa_system_sgpr_workgroup_id_y 0
		.amdhsa_system_sgpr_workgroup_id_z 0
		.amdhsa_system_sgpr_workgroup_info 0
		.amdhsa_system_vgpr_workitem_id 0
		.amdhsa_next_free_vgpr 14
		.amdhsa_next_free_sgpr 16
		.amdhsa_accum_offset 16
		.amdhsa_reserve_vcc 1
		.amdhsa_reserve_flat_scratch 0
		.amdhsa_float_round_mode_32 0
		.amdhsa_float_round_mode_16_64 0
		.amdhsa_float_denorm_mode_32 3
		.amdhsa_float_denorm_mode_16_64 3
		.amdhsa_dx10_clamp 1
		.amdhsa_ieee_mode 1
		.amdhsa_fp16_overflow 0
		.amdhsa_tg_split 0
		.amdhsa_exception_fp_ieee_invalid_op 0
		.amdhsa_exception_fp_denorm_src 0
		.amdhsa_exception_fp_ieee_div_zero 0
		.amdhsa_exception_fp_ieee_overflow 0
		.amdhsa_exception_fp_ieee_underflow 0
		.amdhsa_exception_fp_ieee_inexact 0
		.amdhsa_exception_int_div_zero 0
	.end_amdhsa_kernel
	.section	.text._ZN9rocsparseL13kernel_nrminfILj512EdEEvmPKT0_PNS_15floating_traitsIS1_E6data_tEPKS6_,"axG",@progbits,_ZN9rocsparseL13kernel_nrminfILj512EdEEvmPKT0_PNS_15floating_traitsIS1_E6data_tEPKS6_,comdat
.Lfunc_end89:
	.size	_ZN9rocsparseL13kernel_nrminfILj512EdEEvmPKT0_PNS_15floating_traitsIS1_E6data_tEPKS6_, .Lfunc_end89-_ZN9rocsparseL13kernel_nrminfILj512EdEEvmPKT0_PNS_15floating_traitsIS1_E6data_tEPKS6_
                                        ; -- End function
	.section	.AMDGPU.csdata,"",@progbits
; Kernel info:
; codeLenInByte = 1164
; NumSgprs: 20
; NumVgprs: 14
; NumAgprs: 0
; TotalNumVgprs: 14
; ScratchSize: 0
; MemoryBound: 0
; FloatMode: 240
; IeeeMode: 1
; LDSByteSize: 4096 bytes/workgroup (compile time only)
; SGPRBlocks: 2
; VGPRBlocks: 1
; NumSGPRsForWavesPerEU: 20
; NumVGPRsForWavesPerEU: 14
; AccumOffset: 16
; Occupancy: 8
; WaveLimiterHint : 0
; COMPUTE_PGM_RSRC2:SCRATCH_EN: 0
; COMPUTE_PGM_RSRC2:USER_SGPR: 6
; COMPUTE_PGM_RSRC2:TRAP_HANDLER: 0
; COMPUTE_PGM_RSRC2:TGID_X_EN: 1
; COMPUTE_PGM_RSRC2:TGID_Y_EN: 0
; COMPUTE_PGM_RSRC2:TGID_Z_EN: 0
; COMPUTE_PGM_RSRC2:TIDIG_COMP_CNT: 0
; COMPUTE_PGM_RSRC3_GFX90A:ACCUM_OFFSET: 3
; COMPUTE_PGM_RSRC3_GFX90A:TG_SPLIT: 0
	.section	.text._ZN9rocsparseL18kernel_nrminf_diffILj512E21rocsparse_complex_numIfEEEvmPKT0_S5_PNS_15floating_traitsIS3_E6data_tEPKS8_,"axG",@progbits,_ZN9rocsparseL18kernel_nrminf_diffILj512E21rocsparse_complex_numIfEEEvmPKT0_S5_PNS_15floating_traitsIS3_E6data_tEPKS8_,comdat
	.globl	_ZN9rocsparseL18kernel_nrminf_diffILj512E21rocsparse_complex_numIfEEEvmPKT0_S5_PNS_15floating_traitsIS3_E6data_tEPKS8_ ; -- Begin function _ZN9rocsparseL18kernel_nrminf_diffILj512E21rocsparse_complex_numIfEEEvmPKT0_S5_PNS_15floating_traitsIS3_E6data_tEPKS8_
	.p2align	8
	.type	_ZN9rocsparseL18kernel_nrminf_diffILj512E21rocsparse_complex_numIfEEEvmPKT0_S5_PNS_15floating_traitsIS3_E6data_tEPKS8_,@function
_ZN9rocsparseL18kernel_nrminf_diffILj512E21rocsparse_complex_numIfEEEvmPKT0_S5_PNS_15floating_traitsIS3_E6data_tEPKS8_: ; @_ZN9rocsparseL18kernel_nrminf_diffILj512E21rocsparse_complex_numIfEEEvmPKT0_S5_PNS_15floating_traitsIS3_E6data_tEPKS8_
; %bb.0:
	s_load_dwordx2 s[0:1], s[4:5], 0x0
	v_lshl_or_b32 v2, s6, 9, v0
	v_mov_b32_e32 v3, 0
	s_waitcnt lgkmcnt(0)
	v_cmp_gt_u64_e32 vcc, s[0:1], v[2:3]
	s_and_saveexec_b64 s[2:3], vcc
	s_cbranch_execz .LBB90_8
; %bb.1:
	s_load_dwordx4 s[8:11], s[4:5], 0x8
	v_lshlrev_b64 v[2:3], 3, v[2:3]
	s_waitcnt lgkmcnt(0)
	v_mov_b32_e32 v1, s9
	v_add_co_u32_e32 v4, vcc, s8, v2
	v_addc_co_u32_e32 v5, vcc, v1, v3, vcc
	v_mov_b32_e32 v1, s11
	v_add_co_u32_e32 v2, vcc, s10, v2
	v_addc_co_u32_e32 v3, vcc, v1, v3, vcc
	global_load_dwordx2 v[6:7], v[4:5], off
	global_load_dwordx2 v[8:9], v[2:3], off
                                        ; implicit-def: $vgpr3
	s_waitcnt vmcnt(0)
	v_sub_f32_e32 v1, v6, v8
	v_sub_f32_e32 v4, v7, v9
	v_cmp_gt_f32_e32 vcc, 0, v1
	v_cndmask_b32_e64 v1, v1, -v1, vcc
	v_cmp_gt_f32_e32 vcc, 0, v4
	v_cndmask_b32_e64 v2, v4, -v4, vcc
	v_cmp_ngt_f32_e32 vcc, v1, v2
	s_and_saveexec_b64 s[0:1], vcc
	s_xor_b64 s[6:7], exec, s[0:1]
	s_cbranch_execz .LBB90_5
; %bb.2:
	v_cmp_neq_f32_e32 vcc, 0, v4
	v_mov_b32_e32 v3, 0
	s_and_saveexec_b64 s[8:9], vcc
	s_cbranch_execz .LBB90_4
; %bb.3:
	v_div_scale_f32 v3, s[0:1], v2, v2, v1
	v_rcp_f32_e32 v4, v3
	v_div_scale_f32 v5, vcc, v1, v2, v1
	s_mov_b32 s0, 0xf800000
	v_fma_f32 v6, -v3, v4, 1.0
	v_fmac_f32_e32 v4, v6, v4
	v_mul_f32_e32 v6, v5, v4
	v_fma_f32 v7, -v3, v6, v5
	v_fmac_f32_e32 v6, v7, v4
	v_fma_f32 v3, -v3, v6, v5
	v_div_fmas_f32 v3, v3, v4, v6
	v_div_fixup_f32 v1, v3, v2, v1
	v_fma_f32 v1, v1, v1, 1.0
	v_mul_f32_e32 v3, 0x4f800000, v1
	v_cmp_gt_f32_e32 vcc, s0, v1
	v_cndmask_b32_e32 v1, v1, v3, vcc
	v_sqrt_f32_e32 v3, v1
	v_add_u32_e32 v4, -1, v3
	v_fma_f32 v5, -v4, v3, v1
	v_cmp_ge_f32_e64 s[0:1], 0, v5
	v_add_u32_e32 v5, 1, v3
	v_cndmask_b32_e64 v4, v3, v4, s[0:1]
	v_fma_f32 v3, -v5, v3, v1
	v_cmp_lt_f32_e64 s[0:1], 0, v3
	v_cndmask_b32_e64 v3, v4, v5, s[0:1]
	v_mul_f32_e32 v4, 0x37800000, v3
	v_cndmask_b32_e32 v3, v3, v4, vcc
	v_mov_b32_e32 v4, 0x260
	v_cmp_class_f32_e32 vcc, v1, v4
	v_cndmask_b32_e32 v1, v3, v1, vcc
	v_mul_f32_e32 v3, v2, v1
.LBB90_4:
	s_or_b64 exec, exec, s[8:9]
                                        ; implicit-def: $vgpr1
                                        ; implicit-def: $vgpr2
.LBB90_5:
	s_andn2_saveexec_b64 s[6:7], s[6:7]
	s_cbranch_execz .LBB90_7
; %bb.6:
	v_div_scale_f32 v3, s[0:1], v1, v1, v2
	v_rcp_f32_e32 v4, v3
	v_div_scale_f32 v5, vcc, v2, v1, v2
	s_mov_b32 s0, 0xf800000
	v_fma_f32 v6, -v3, v4, 1.0
	v_fmac_f32_e32 v4, v6, v4
	v_mul_f32_e32 v6, v5, v4
	v_fma_f32 v7, -v3, v6, v5
	v_fmac_f32_e32 v6, v7, v4
	v_fma_f32 v3, -v3, v6, v5
	v_div_fmas_f32 v3, v3, v4, v6
	v_div_fixup_f32 v2, v3, v1, v2
	v_fma_f32 v2, v2, v2, 1.0
	v_mul_f32_e32 v3, 0x4f800000, v2
	v_cmp_gt_f32_e32 vcc, s0, v2
	v_cndmask_b32_e32 v2, v2, v3, vcc
	v_sqrt_f32_e32 v3, v2
	v_add_u32_e32 v4, -1, v3
	v_fma_f32 v5, -v4, v3, v2
	v_cmp_ge_f32_e64 s[0:1], 0, v5
	v_add_u32_e32 v5, 1, v3
	v_cndmask_b32_e64 v4, v3, v4, s[0:1]
	v_fma_f32 v3, -v5, v3, v2
	v_cmp_lt_f32_e64 s[0:1], 0, v3
	v_cndmask_b32_e64 v3, v4, v5, s[0:1]
	v_mul_f32_e32 v4, 0x37800000, v3
	v_cndmask_b32_e32 v3, v3, v4, vcc
	v_mov_b32_e32 v4, 0x260
	v_cmp_class_f32_e32 vcc, v2, v4
	v_cndmask_b32_e32 v2, v3, v2, vcc
	v_mul_f32_e32 v3, v1, v2
.LBB90_7:
	s_or_b64 exec, exec, s[6:7]
.LBB90_8:
	s_or_b64 exec, exec, s[2:3]
	s_movk_i32 s0, 0x100
	v_lshlrev_b32_e32 v1, 2, v0
	v_cmp_gt_u32_e32 vcc, s0, v0
	ds_write_b32 v1, v3
	s_waitcnt lgkmcnt(0)
	s_barrier
	s_and_saveexec_b64 s[0:1], vcc
	s_cbranch_execz .LBB90_10
; %bb.9:
	ds_read2st64_b32 v[2:3], v1 offset1:4
	s_waitcnt lgkmcnt(0)
	v_cmp_lt_f32_e32 vcc, v2, v3
	v_cndmask_b32_e32 v2, v2, v3, vcc
	ds_write_b32 v1, v2
.LBB90_10:
	s_or_b64 exec, exec, s[0:1]
	s_movk_i32 s0, 0x80
	v_cmp_gt_u32_e32 vcc, s0, v0
	s_waitcnt lgkmcnt(0)
	s_barrier
	s_and_saveexec_b64 s[0:1], vcc
	s_cbranch_execz .LBB90_12
; %bb.11:
	ds_read2st64_b32 v[2:3], v1 offset1:2
	s_waitcnt lgkmcnt(0)
	v_cmp_lt_f32_e32 vcc, v2, v3
	v_cndmask_b32_e32 v2, v2, v3, vcc
	ds_write_b32 v1, v2
.LBB90_12:
	s_or_b64 exec, exec, s[0:1]
	v_cmp_gt_u32_e32 vcc, 64, v0
	s_waitcnt lgkmcnt(0)
	s_barrier
	s_and_saveexec_b64 s[0:1], vcc
	s_cbranch_execz .LBB90_14
; %bb.13:
	ds_read2st64_b32 v[2:3], v1 offset1:1
	s_waitcnt lgkmcnt(0)
	v_cmp_lt_f32_e32 vcc, v2, v3
	v_cndmask_b32_e32 v2, v2, v3, vcc
	ds_write_b32 v1, v2
.LBB90_14:
	s_or_b64 exec, exec, s[0:1]
	v_cmp_gt_u32_e32 vcc, 32, v0
	s_waitcnt lgkmcnt(0)
	s_barrier
	s_and_saveexec_b64 s[0:1], vcc
	s_cbranch_execz .LBB90_16
; %bb.15:
	ds_read2_b32 v[2:3], v1 offset1:32
	s_waitcnt lgkmcnt(0)
	v_cmp_lt_f32_e32 vcc, v2, v3
	v_cndmask_b32_e32 v2, v2, v3, vcc
	ds_write_b32 v1, v2
.LBB90_16:
	s_or_b64 exec, exec, s[0:1]
	v_cmp_gt_u32_e32 vcc, 16, v0
	s_waitcnt lgkmcnt(0)
	s_barrier
	s_and_saveexec_b64 s[0:1], vcc
	s_cbranch_execz .LBB90_18
; %bb.17:
	ds_read2_b32 v[2:3], v1 offset1:16
	s_waitcnt lgkmcnt(0)
	v_cmp_lt_f32_e32 vcc, v2, v3
	v_cndmask_b32_e32 v2, v2, v3, vcc
	ds_write_b32 v1, v2
.LBB90_18:
	s_or_b64 exec, exec, s[0:1]
	v_cmp_gt_u32_e32 vcc, 8, v0
	s_waitcnt lgkmcnt(0)
	s_barrier
	s_and_saveexec_b64 s[0:1], vcc
	s_cbranch_execz .LBB90_20
; %bb.19:
	ds_read2_b32 v[2:3], v1 offset1:8
	s_waitcnt lgkmcnt(0)
	v_cmp_lt_f32_e32 vcc, v2, v3
	v_cndmask_b32_e32 v2, v2, v3, vcc
	ds_write_b32 v1, v2
.LBB90_20:
	s_or_b64 exec, exec, s[0:1]
	v_cmp_gt_u32_e32 vcc, 4, v0
	s_waitcnt lgkmcnt(0)
	s_barrier
	s_and_saveexec_b64 s[0:1], vcc
	s_cbranch_execz .LBB90_22
; %bb.21:
	ds_read2_b32 v[2:3], v1 offset1:4
	s_waitcnt lgkmcnt(0)
	v_cmp_lt_f32_e32 vcc, v2, v3
	v_cndmask_b32_e32 v2, v2, v3, vcc
	ds_write_b32 v1, v2
.LBB90_22:
	s_or_b64 exec, exec, s[0:1]
	v_cmp_gt_u32_e32 vcc, 2, v0
	s_waitcnt lgkmcnt(0)
	s_barrier
	s_and_saveexec_b64 s[0:1], vcc
	s_cbranch_execz .LBB90_24
; %bb.23:
	ds_read2_b32 v[2:3], v1 offset1:2
	s_waitcnt lgkmcnt(0)
	v_cmp_lt_f32_e32 vcc, v2, v3
	v_cndmask_b32_e32 v2, v2, v3, vcc
	ds_write_b32 v1, v2
.LBB90_24:
	s_or_b64 exec, exec, s[0:1]
	v_cmp_eq_u32_e32 vcc, 0, v0
	s_waitcnt lgkmcnt(0)
	s_barrier
	s_and_saveexec_b64 s[2:3], vcc
	s_cbranch_execz .LBB90_26
; %bb.25:
	v_mov_b32_e32 v2, 0
	ds_read_b64 v[0:1], v2
	s_waitcnt lgkmcnt(0)
	v_cmp_lt_f32_e64 s[0:1], v0, v1
	v_cndmask_b32_e64 v0, v0, v1, s[0:1]
	ds_write_b32 v2, v0
.LBB90_26:
	s_or_b64 exec, exec, s[2:3]
	s_waitcnt lgkmcnt(0)
	s_barrier
	s_and_saveexec_b64 s[0:1], vcc
	s_cbranch_execz .LBB90_38
; %bb.27:
	s_load_dwordx4 s[4:7], s[4:5], 0x18
	v_mov_b32_e32 v1, 0
	ds_read_b32 v0, v1
	s_mov_b64 s[2:3], 0
	s_waitcnt lgkmcnt(0)
	s_cmp_eq_u64 s[6:7], 0
	s_cbranch_scc1 .LBB90_33
; %bb.28:
	s_load_dword s6, s[6:7], 0x0
	global_load_dword v3, v1, s[4:5] glc
                                        ; implicit-def: $sgpr10_sgpr11
	s_waitcnt lgkmcnt(0)
	v_div_scale_f32 v2, s[0:1], s6, s6, v0
	v_rcp_f32_e32 v4, v2
	v_div_scale_f32 v5, vcc, v0, s6, v0
	s_brev_b32 s0, 1
	v_fma_f32 v6, -v2, v4, 1.0
	v_fmac_f32_e32 v4, v6, v4
	v_mul_f32_e32 v6, v5, v4
	v_fma_f32 v7, -v2, v6, v5
	v_fmac_f32_e32 v6, v7, v4
	v_fma_f32 v2, -v2, v6, v5
	v_div_fmas_f32 v2, v2, v4, v6
	v_div_fixup_f32 v2, v2, s6, v0
	v_cmp_eq_f32_e32 vcc, 0, v2
                                        ; implicit-def: $sgpr6_sgpr7
	s_waitcnt vmcnt(0)
	v_cmp_eq_u32_e64 s[8:9], s0, v3
	s_branch .LBB90_30
.LBB90_29:                              ;   in Loop: Header=BB90_30 Depth=1
	s_or_b64 exec, exec, s[12:13]
	s_and_b64 s[0:1], exec, s[6:7]
	s_or_b64 s[2:3], s[0:1], s[2:3]
	s_andn2_b64 s[0:1], s[8:9], exec
	s_and_b64 s[8:9], s[10:11], exec
	s_or_b64 s[8:9], s[0:1], s[8:9]
	s_andn2_b64 exec, exec, s[2:3]
	s_cbranch_execz .LBB90_32
.LBB90_30:                              ; =>This Inner Loop Header: Depth=1
	v_cmp_lt_f32_e64 s[0:1], v3, v2
	s_and_b64 s[12:13], vcc, s[8:9]
	s_or_b64 s[0:1], s[0:1], s[12:13]
	s_andn2_b64 s[10:11], s[10:11], exec
	s_or_b64 s[6:7], s[6:7], exec
	s_and_saveexec_b64 s[12:13], s[0:1]
	s_cbranch_execz .LBB90_29
; %bb.31:                               ;   in Loop: Header=BB90_30 Depth=1
	global_atomic_cmpswap v4, v1, v[2:3], s[4:5] glc
	s_andn2_b64 s[10:11], s[10:11], exec
	s_andn2_b64 s[6:7], s[6:7], exec
                                        ; implicit-def: $sgpr8_sgpr9
	s_waitcnt vmcnt(0)
	v_cmp_eq_u32_e64 s[0:1], v4, v3
	v_cndmask_b32_e64 v3, v4, v3, s[0:1]
	v_cmp_class_f32_e64 s[14:15], v3, 32
	s_and_b64 s[0:1], s[0:1], exec
	s_and_b64 s[14:15], s[14:15], exec
	s_or_b64 s[6:7], s[6:7], s[0:1]
	s_or_b64 s[10:11], s[10:11], s[14:15]
	v_mov_b32_e32 v3, v4
	s_branch .LBB90_29
.LBB90_32:
	s_or_b64 exec, exec, s[2:3]
	s_branch .LBB90_38
.LBB90_33:
	s_cbranch_execz .LBB90_38
; %bb.34:
	v_mov_b32_e32 v2, 0
	global_load_dword v1, v2, s[4:5] glc
	s_brev_b32 s0, 1
	v_cmp_eq_f32_e32 vcc, 0, v0
	s_mov_b64 s[2:3], 0
                                        ; implicit-def: $sgpr6_sgpr7
                                        ; implicit-def: $sgpr10_sgpr11
	s_waitcnt vmcnt(0)
	v_cmp_eq_u32_e64 s[8:9], s0, v1
	s_branch .LBB90_36
.LBB90_35:                              ;   in Loop: Header=BB90_36 Depth=1
	s_or_b64 exec, exec, s[12:13]
	s_and_b64 s[0:1], exec, s[6:7]
	s_or_b64 s[2:3], s[0:1], s[2:3]
	s_andn2_b64 s[0:1], s[8:9], exec
	s_and_b64 s[8:9], s[10:11], exec
	s_or_b64 s[8:9], s[0:1], s[8:9]
	s_andn2_b64 exec, exec, s[2:3]
	s_cbranch_execz .LBB90_38
.LBB90_36:                              ; =>This Inner Loop Header: Depth=1
	v_cmp_lt_f32_e64 s[0:1], v1, v0
	s_and_b64 s[12:13], vcc, s[8:9]
	s_or_b64 s[0:1], s[0:1], s[12:13]
	s_andn2_b64 s[10:11], s[10:11], exec
	s_or_b64 s[6:7], s[6:7], exec
	s_and_saveexec_b64 s[12:13], s[0:1]
	s_cbranch_execz .LBB90_35
; %bb.37:                               ;   in Loop: Header=BB90_36 Depth=1
	global_atomic_cmpswap v3, v2, v[0:1], s[4:5] glc
	s_andn2_b64 s[10:11], s[10:11], exec
	s_andn2_b64 s[6:7], s[6:7], exec
                                        ; implicit-def: $sgpr8_sgpr9
	s_waitcnt vmcnt(0)
	v_cmp_eq_u32_e64 s[0:1], v3, v1
	v_cndmask_b32_e64 v1, v3, v1, s[0:1]
	v_cmp_class_f32_e64 s[14:15], v1, 32
	s_and_b64 s[0:1], s[0:1], exec
	s_and_b64 s[14:15], s[14:15], exec
	s_or_b64 s[6:7], s[6:7], s[0:1]
	s_or_b64 s[10:11], s[10:11], s[14:15]
	v_mov_b32_e32 v1, v3
	s_branch .LBB90_35
.LBB90_38:
	s_endpgm
	.section	.rodata,"a",@progbits
	.p2align	6, 0x0
	.amdhsa_kernel _ZN9rocsparseL18kernel_nrminf_diffILj512E21rocsparse_complex_numIfEEEvmPKT0_S5_PNS_15floating_traitsIS3_E6data_tEPKS8_
		.amdhsa_group_segment_fixed_size 2048
		.amdhsa_private_segment_fixed_size 0
		.amdhsa_kernarg_size 40
		.amdhsa_user_sgpr_count 6
		.amdhsa_user_sgpr_private_segment_buffer 1
		.amdhsa_user_sgpr_dispatch_ptr 0
		.amdhsa_user_sgpr_queue_ptr 0
		.amdhsa_user_sgpr_kernarg_segment_ptr 1
		.amdhsa_user_sgpr_dispatch_id 0
		.amdhsa_user_sgpr_flat_scratch_init 0
		.amdhsa_user_sgpr_kernarg_preload_length 0
		.amdhsa_user_sgpr_kernarg_preload_offset 0
		.amdhsa_user_sgpr_private_segment_size 0
		.amdhsa_uses_dynamic_stack 0
		.amdhsa_system_sgpr_private_segment_wavefront_offset 0
		.amdhsa_system_sgpr_workgroup_id_x 1
		.amdhsa_system_sgpr_workgroup_id_y 0
		.amdhsa_system_sgpr_workgroup_id_z 0
		.amdhsa_system_sgpr_workgroup_info 0
		.amdhsa_system_vgpr_workitem_id 0
		.amdhsa_next_free_vgpr 10
		.amdhsa_next_free_sgpr 16
		.amdhsa_accum_offset 12
		.amdhsa_reserve_vcc 1
		.amdhsa_reserve_flat_scratch 0
		.amdhsa_float_round_mode_32 0
		.amdhsa_float_round_mode_16_64 0
		.amdhsa_float_denorm_mode_32 3
		.amdhsa_float_denorm_mode_16_64 3
		.amdhsa_dx10_clamp 1
		.amdhsa_ieee_mode 1
		.amdhsa_fp16_overflow 0
		.amdhsa_tg_split 0
		.amdhsa_exception_fp_ieee_invalid_op 0
		.amdhsa_exception_fp_denorm_src 0
		.amdhsa_exception_fp_ieee_div_zero 0
		.amdhsa_exception_fp_ieee_overflow 0
		.amdhsa_exception_fp_ieee_underflow 0
		.amdhsa_exception_fp_ieee_inexact 0
		.amdhsa_exception_int_div_zero 0
	.end_amdhsa_kernel
	.section	.text._ZN9rocsparseL18kernel_nrminf_diffILj512E21rocsparse_complex_numIfEEEvmPKT0_S5_PNS_15floating_traitsIS3_E6data_tEPKS8_,"axG",@progbits,_ZN9rocsparseL18kernel_nrminf_diffILj512E21rocsparse_complex_numIfEEEvmPKT0_S5_PNS_15floating_traitsIS3_E6data_tEPKS8_,comdat
.Lfunc_end90:
	.size	_ZN9rocsparseL18kernel_nrminf_diffILj512E21rocsparse_complex_numIfEEEvmPKT0_S5_PNS_15floating_traitsIS3_E6data_tEPKS8_, .Lfunc_end90-_ZN9rocsparseL18kernel_nrminf_diffILj512E21rocsparse_complex_numIfEEEvmPKT0_S5_PNS_15floating_traitsIS3_E6data_tEPKS8_
                                        ; -- End function
	.section	.AMDGPU.csdata,"",@progbits
; Kernel info:
; codeLenInByte = 1564
; NumSgprs: 20
; NumVgprs: 10
; NumAgprs: 0
; TotalNumVgprs: 10
; ScratchSize: 0
; MemoryBound: 0
; FloatMode: 240
; IeeeMode: 1
; LDSByteSize: 2048 bytes/workgroup (compile time only)
; SGPRBlocks: 2
; VGPRBlocks: 1
; NumSGPRsForWavesPerEU: 20
; NumVGPRsForWavesPerEU: 10
; AccumOffset: 12
; Occupancy: 8
; WaveLimiterHint : 0
; COMPUTE_PGM_RSRC2:SCRATCH_EN: 0
; COMPUTE_PGM_RSRC2:USER_SGPR: 6
; COMPUTE_PGM_RSRC2:TRAP_HANDLER: 0
; COMPUTE_PGM_RSRC2:TGID_X_EN: 1
; COMPUTE_PGM_RSRC2:TGID_Y_EN: 0
; COMPUTE_PGM_RSRC2:TGID_Z_EN: 0
; COMPUTE_PGM_RSRC2:TIDIG_COMP_CNT: 0
; COMPUTE_PGM_RSRC3_GFX90A:ACCUM_OFFSET: 2
; COMPUTE_PGM_RSRC3_GFX90A:TG_SPLIT: 0
	.section	.text._ZN9rocsparseL13kernel_nrminfILj512E21rocsparse_complex_numIfEEEvmPKT0_PNS_15floating_traitsIS3_E6data_tEPKS8_,"axG",@progbits,_ZN9rocsparseL13kernel_nrminfILj512E21rocsparse_complex_numIfEEEvmPKT0_PNS_15floating_traitsIS3_E6data_tEPKS8_,comdat
	.globl	_ZN9rocsparseL13kernel_nrminfILj512E21rocsparse_complex_numIfEEEvmPKT0_PNS_15floating_traitsIS3_E6data_tEPKS8_ ; -- Begin function _ZN9rocsparseL13kernel_nrminfILj512E21rocsparse_complex_numIfEEEvmPKT0_PNS_15floating_traitsIS3_E6data_tEPKS8_
	.p2align	8
	.type	_ZN9rocsparseL13kernel_nrminfILj512E21rocsparse_complex_numIfEEEvmPKT0_PNS_15floating_traitsIS3_E6data_tEPKS8_,@function
_ZN9rocsparseL13kernel_nrminfILj512E21rocsparse_complex_numIfEEEvmPKT0_PNS_15floating_traitsIS3_E6data_tEPKS8_: ; @_ZN9rocsparseL13kernel_nrminfILj512E21rocsparse_complex_numIfEEEvmPKT0_PNS_15floating_traitsIS3_E6data_tEPKS8_
; %bb.0:
	s_load_dwordx2 s[0:1], s[4:5], 0x0
	v_lshl_or_b32 v2, s6, 9, v0
	v_mov_b32_e32 v3, 0
	s_waitcnt lgkmcnt(0)
	v_cmp_gt_u64_e32 vcc, s[0:1], v[2:3]
	s_and_saveexec_b64 s[2:3], vcc
	s_cbranch_execz .LBB91_8
; %bb.1:
	s_load_dwordx2 s[0:1], s[4:5], 0x8
	v_lshlrev_b64 v[2:3], 3, v[2:3]
	s_waitcnt lgkmcnt(0)
	v_mov_b32_e32 v1, s1
	v_add_co_u32_e32 v2, vcc, s0, v2
	v_addc_co_u32_e32 v3, vcc, v1, v3, vcc
	global_load_dwordx2 v[4:5], v[2:3], off
                                        ; implicit-def: $vgpr3
	s_waitcnt vmcnt(0)
	v_cmp_gt_f32_e32 vcc, 0, v4
	v_cndmask_b32_e64 v1, v4, -v4, vcc
	v_cmp_gt_f32_e32 vcc, 0, v5
	v_cndmask_b32_e64 v2, v5, -v5, vcc
	v_cmp_ngt_f32_e32 vcc, v1, v2
	s_and_saveexec_b64 s[0:1], vcc
	s_xor_b64 s[6:7], exec, s[0:1]
	s_cbranch_execz .LBB91_5
; %bb.2:
	v_cmp_neq_f32_e32 vcc, 0, v5
	v_mov_b32_e32 v3, 0
	s_and_saveexec_b64 s[8:9], vcc
	s_cbranch_execz .LBB91_4
; %bb.3:
	v_div_scale_f32 v3, s[0:1], v2, v2, v1
	v_rcp_f32_e32 v4, v3
	v_div_scale_f32 v5, vcc, v1, v2, v1
	s_mov_b32 s0, 0xf800000
	v_fma_f32 v6, -v3, v4, 1.0
	v_fmac_f32_e32 v4, v6, v4
	v_mul_f32_e32 v6, v5, v4
	v_fma_f32 v7, -v3, v6, v5
	v_fmac_f32_e32 v6, v7, v4
	v_fma_f32 v3, -v3, v6, v5
	v_div_fmas_f32 v3, v3, v4, v6
	v_div_fixup_f32 v1, v3, v2, v1
	v_fma_f32 v1, v1, v1, 1.0
	v_mul_f32_e32 v3, 0x4f800000, v1
	v_cmp_gt_f32_e32 vcc, s0, v1
	v_cndmask_b32_e32 v1, v1, v3, vcc
	v_sqrt_f32_e32 v3, v1
	v_add_u32_e32 v4, -1, v3
	v_fma_f32 v5, -v4, v3, v1
	v_cmp_ge_f32_e64 s[0:1], 0, v5
	v_add_u32_e32 v5, 1, v3
	v_cndmask_b32_e64 v4, v3, v4, s[0:1]
	v_fma_f32 v3, -v5, v3, v1
	v_cmp_lt_f32_e64 s[0:1], 0, v3
	v_cndmask_b32_e64 v3, v4, v5, s[0:1]
	v_mul_f32_e32 v4, 0x37800000, v3
	v_cndmask_b32_e32 v3, v3, v4, vcc
	v_mov_b32_e32 v4, 0x260
	v_cmp_class_f32_e32 vcc, v1, v4
	v_cndmask_b32_e32 v1, v3, v1, vcc
	v_mul_f32_e32 v3, v2, v1
.LBB91_4:
	s_or_b64 exec, exec, s[8:9]
                                        ; implicit-def: $vgpr1
                                        ; implicit-def: $vgpr2
.LBB91_5:
	s_andn2_saveexec_b64 s[6:7], s[6:7]
	s_cbranch_execz .LBB91_7
; %bb.6:
	v_div_scale_f32 v3, s[0:1], v1, v1, v2
	v_rcp_f32_e32 v4, v3
	v_div_scale_f32 v5, vcc, v2, v1, v2
	s_mov_b32 s0, 0xf800000
	v_fma_f32 v6, -v3, v4, 1.0
	v_fmac_f32_e32 v4, v6, v4
	v_mul_f32_e32 v6, v5, v4
	v_fma_f32 v7, -v3, v6, v5
	v_fmac_f32_e32 v6, v7, v4
	v_fma_f32 v3, -v3, v6, v5
	v_div_fmas_f32 v3, v3, v4, v6
	v_div_fixup_f32 v2, v3, v1, v2
	v_fma_f32 v2, v2, v2, 1.0
	v_mul_f32_e32 v3, 0x4f800000, v2
	v_cmp_gt_f32_e32 vcc, s0, v2
	v_cndmask_b32_e32 v2, v2, v3, vcc
	v_sqrt_f32_e32 v3, v2
	v_add_u32_e32 v4, -1, v3
	v_fma_f32 v5, -v4, v3, v2
	v_cmp_ge_f32_e64 s[0:1], 0, v5
	v_add_u32_e32 v5, 1, v3
	v_cndmask_b32_e64 v4, v3, v4, s[0:1]
	v_fma_f32 v3, -v5, v3, v2
	v_cmp_lt_f32_e64 s[0:1], 0, v3
	v_cndmask_b32_e64 v3, v4, v5, s[0:1]
	v_mul_f32_e32 v4, 0x37800000, v3
	v_cndmask_b32_e32 v3, v3, v4, vcc
	v_mov_b32_e32 v4, 0x260
	v_cmp_class_f32_e32 vcc, v2, v4
	v_cndmask_b32_e32 v2, v3, v2, vcc
	v_mul_f32_e32 v3, v1, v2
.LBB91_7:
	s_or_b64 exec, exec, s[6:7]
.LBB91_8:
	s_or_b64 exec, exec, s[2:3]
	s_movk_i32 s0, 0x100
	v_lshlrev_b32_e32 v1, 2, v0
	v_cmp_gt_u32_e32 vcc, s0, v0
	ds_write_b32 v1, v3
	s_waitcnt lgkmcnt(0)
	s_barrier
	s_and_saveexec_b64 s[0:1], vcc
	s_cbranch_execz .LBB91_10
; %bb.9:
	ds_read2st64_b32 v[2:3], v1 offset1:4
	s_waitcnt lgkmcnt(0)
	v_cmp_lt_f32_e32 vcc, v2, v3
	v_cndmask_b32_e32 v2, v2, v3, vcc
	ds_write_b32 v1, v2
.LBB91_10:
	s_or_b64 exec, exec, s[0:1]
	s_movk_i32 s0, 0x80
	v_cmp_gt_u32_e32 vcc, s0, v0
	s_waitcnt lgkmcnt(0)
	s_barrier
	s_and_saveexec_b64 s[0:1], vcc
	s_cbranch_execz .LBB91_12
; %bb.11:
	ds_read2st64_b32 v[2:3], v1 offset1:2
	s_waitcnt lgkmcnt(0)
	v_cmp_lt_f32_e32 vcc, v2, v3
	v_cndmask_b32_e32 v2, v2, v3, vcc
	ds_write_b32 v1, v2
.LBB91_12:
	s_or_b64 exec, exec, s[0:1]
	v_cmp_gt_u32_e32 vcc, 64, v0
	s_waitcnt lgkmcnt(0)
	s_barrier
	s_and_saveexec_b64 s[0:1], vcc
	s_cbranch_execz .LBB91_14
; %bb.13:
	ds_read2st64_b32 v[2:3], v1 offset1:1
	s_waitcnt lgkmcnt(0)
	v_cmp_lt_f32_e32 vcc, v2, v3
	v_cndmask_b32_e32 v2, v2, v3, vcc
	ds_write_b32 v1, v2
.LBB91_14:
	s_or_b64 exec, exec, s[0:1]
	v_cmp_gt_u32_e32 vcc, 32, v0
	s_waitcnt lgkmcnt(0)
	s_barrier
	s_and_saveexec_b64 s[0:1], vcc
	s_cbranch_execz .LBB91_16
; %bb.15:
	ds_read2_b32 v[2:3], v1 offset1:32
	s_waitcnt lgkmcnt(0)
	v_cmp_lt_f32_e32 vcc, v2, v3
	v_cndmask_b32_e32 v2, v2, v3, vcc
	ds_write_b32 v1, v2
.LBB91_16:
	s_or_b64 exec, exec, s[0:1]
	v_cmp_gt_u32_e32 vcc, 16, v0
	s_waitcnt lgkmcnt(0)
	s_barrier
	s_and_saveexec_b64 s[0:1], vcc
	s_cbranch_execz .LBB91_18
; %bb.17:
	ds_read2_b32 v[2:3], v1 offset1:16
	s_waitcnt lgkmcnt(0)
	v_cmp_lt_f32_e32 vcc, v2, v3
	v_cndmask_b32_e32 v2, v2, v3, vcc
	ds_write_b32 v1, v2
.LBB91_18:
	;; [unrolled: 13-line block ×5, first 2 shown]
	s_or_b64 exec, exec, s[0:1]
	v_cmp_eq_u32_e32 vcc, 0, v0
	s_waitcnt lgkmcnt(0)
	s_barrier
	s_and_saveexec_b64 s[2:3], vcc
	s_cbranch_execz .LBB91_26
; %bb.25:
	v_mov_b32_e32 v2, 0
	ds_read_b64 v[0:1], v2
	s_waitcnt lgkmcnt(0)
	v_cmp_lt_f32_e64 s[0:1], v0, v1
	v_cndmask_b32_e64 v0, v0, v1, s[0:1]
	ds_write_b32 v2, v0
.LBB91_26:
	s_or_b64 exec, exec, s[2:3]
	s_waitcnt lgkmcnt(0)
	s_barrier
	s_and_saveexec_b64 s[0:1], vcc
	s_cbranch_execz .LBB91_38
; %bb.27:
	s_load_dwordx4 s[4:7], s[4:5], 0x10
	v_mov_b32_e32 v1, 0
	ds_read_b32 v0, v1
	s_mov_b64 s[2:3], 0
	s_waitcnt lgkmcnt(0)
	s_cmp_eq_u64 s[6:7], 0
	s_cbranch_scc1 .LBB91_33
; %bb.28:
	s_load_dword s6, s[6:7], 0x0
	global_load_dword v3, v1, s[4:5] glc
                                        ; implicit-def: $sgpr10_sgpr11
	s_waitcnt lgkmcnt(0)
	v_div_scale_f32 v2, s[0:1], s6, s6, v0
	v_rcp_f32_e32 v4, v2
	v_div_scale_f32 v5, vcc, v0, s6, v0
	s_brev_b32 s0, 1
	v_fma_f32 v6, -v2, v4, 1.0
	v_fmac_f32_e32 v4, v6, v4
	v_mul_f32_e32 v6, v5, v4
	v_fma_f32 v7, -v2, v6, v5
	v_fmac_f32_e32 v6, v7, v4
	v_fma_f32 v2, -v2, v6, v5
	v_div_fmas_f32 v2, v2, v4, v6
	v_div_fixup_f32 v2, v2, s6, v0
	v_cmp_eq_f32_e32 vcc, 0, v2
                                        ; implicit-def: $sgpr6_sgpr7
	s_waitcnt vmcnt(0)
	v_cmp_eq_u32_e64 s[8:9], s0, v3
	s_branch .LBB91_30
.LBB91_29:                              ;   in Loop: Header=BB91_30 Depth=1
	s_or_b64 exec, exec, s[12:13]
	s_and_b64 s[0:1], exec, s[6:7]
	s_or_b64 s[2:3], s[0:1], s[2:3]
	s_andn2_b64 s[0:1], s[8:9], exec
	s_and_b64 s[8:9], s[10:11], exec
	s_or_b64 s[8:9], s[0:1], s[8:9]
	s_andn2_b64 exec, exec, s[2:3]
	s_cbranch_execz .LBB91_32
.LBB91_30:                              ; =>This Inner Loop Header: Depth=1
	v_cmp_lt_f32_e64 s[0:1], v3, v2
	s_and_b64 s[12:13], vcc, s[8:9]
	s_or_b64 s[0:1], s[0:1], s[12:13]
	s_andn2_b64 s[10:11], s[10:11], exec
	s_or_b64 s[6:7], s[6:7], exec
	s_and_saveexec_b64 s[12:13], s[0:1]
	s_cbranch_execz .LBB91_29
; %bb.31:                               ;   in Loop: Header=BB91_30 Depth=1
	global_atomic_cmpswap v4, v1, v[2:3], s[4:5] glc
	s_andn2_b64 s[10:11], s[10:11], exec
	s_andn2_b64 s[6:7], s[6:7], exec
                                        ; implicit-def: $sgpr8_sgpr9
	s_waitcnt vmcnt(0)
	v_cmp_eq_u32_e64 s[0:1], v4, v3
	v_cndmask_b32_e64 v3, v4, v3, s[0:1]
	v_cmp_class_f32_e64 s[14:15], v3, 32
	s_and_b64 s[0:1], s[0:1], exec
	s_and_b64 s[14:15], s[14:15], exec
	s_or_b64 s[6:7], s[6:7], s[0:1]
	s_or_b64 s[10:11], s[10:11], s[14:15]
	v_mov_b32_e32 v3, v4
	s_branch .LBB91_29
.LBB91_32:
	s_or_b64 exec, exec, s[2:3]
	s_branch .LBB91_38
.LBB91_33:
	s_cbranch_execz .LBB91_38
; %bb.34:
	v_mov_b32_e32 v2, 0
	global_load_dword v1, v2, s[4:5] glc
	s_brev_b32 s0, 1
	v_cmp_eq_f32_e32 vcc, 0, v0
	s_mov_b64 s[2:3], 0
                                        ; implicit-def: $sgpr6_sgpr7
                                        ; implicit-def: $sgpr10_sgpr11
	s_waitcnt vmcnt(0)
	v_cmp_eq_u32_e64 s[8:9], s0, v1
	s_branch .LBB91_36
.LBB91_35:                              ;   in Loop: Header=BB91_36 Depth=1
	s_or_b64 exec, exec, s[12:13]
	s_and_b64 s[0:1], exec, s[6:7]
	s_or_b64 s[2:3], s[0:1], s[2:3]
	s_andn2_b64 s[0:1], s[8:9], exec
	s_and_b64 s[8:9], s[10:11], exec
	s_or_b64 s[8:9], s[0:1], s[8:9]
	s_andn2_b64 exec, exec, s[2:3]
	s_cbranch_execz .LBB91_38
.LBB91_36:                              ; =>This Inner Loop Header: Depth=1
	v_cmp_lt_f32_e64 s[0:1], v1, v0
	s_and_b64 s[12:13], vcc, s[8:9]
	s_or_b64 s[0:1], s[0:1], s[12:13]
	s_andn2_b64 s[10:11], s[10:11], exec
	s_or_b64 s[6:7], s[6:7], exec
	s_and_saveexec_b64 s[12:13], s[0:1]
	s_cbranch_execz .LBB91_35
; %bb.37:                               ;   in Loop: Header=BB91_36 Depth=1
	global_atomic_cmpswap v3, v2, v[0:1], s[4:5] glc
	s_andn2_b64 s[10:11], s[10:11], exec
	s_andn2_b64 s[6:7], s[6:7], exec
                                        ; implicit-def: $sgpr8_sgpr9
	s_waitcnt vmcnt(0)
	v_cmp_eq_u32_e64 s[0:1], v3, v1
	v_cndmask_b32_e64 v1, v3, v1, s[0:1]
	v_cmp_class_f32_e64 s[14:15], v1, 32
	s_and_b64 s[0:1], s[0:1], exec
	s_and_b64 s[14:15], s[14:15], exec
	s_or_b64 s[6:7], s[6:7], s[0:1]
	s_or_b64 s[10:11], s[10:11], s[14:15]
	v_mov_b32_e32 v1, v3
	s_branch .LBB91_35
.LBB91_38:
	s_endpgm
	.section	.rodata,"a",@progbits
	.p2align	6, 0x0
	.amdhsa_kernel _ZN9rocsparseL13kernel_nrminfILj512E21rocsparse_complex_numIfEEEvmPKT0_PNS_15floating_traitsIS3_E6data_tEPKS8_
		.amdhsa_group_segment_fixed_size 2048
		.amdhsa_private_segment_fixed_size 0
		.amdhsa_kernarg_size 32
		.amdhsa_user_sgpr_count 6
		.amdhsa_user_sgpr_private_segment_buffer 1
		.amdhsa_user_sgpr_dispatch_ptr 0
		.amdhsa_user_sgpr_queue_ptr 0
		.amdhsa_user_sgpr_kernarg_segment_ptr 1
		.amdhsa_user_sgpr_dispatch_id 0
		.amdhsa_user_sgpr_flat_scratch_init 0
		.amdhsa_user_sgpr_kernarg_preload_length 0
		.amdhsa_user_sgpr_kernarg_preload_offset 0
		.amdhsa_user_sgpr_private_segment_size 0
		.amdhsa_uses_dynamic_stack 0
		.amdhsa_system_sgpr_private_segment_wavefront_offset 0
		.amdhsa_system_sgpr_workgroup_id_x 1
		.amdhsa_system_sgpr_workgroup_id_y 0
		.amdhsa_system_sgpr_workgroup_id_z 0
		.amdhsa_system_sgpr_workgroup_info 0
		.amdhsa_system_vgpr_workitem_id 0
		.amdhsa_next_free_vgpr 8
		.amdhsa_next_free_sgpr 16
		.amdhsa_accum_offset 8
		.amdhsa_reserve_vcc 1
		.amdhsa_reserve_flat_scratch 0
		.amdhsa_float_round_mode_32 0
		.amdhsa_float_round_mode_16_64 0
		.amdhsa_float_denorm_mode_32 3
		.amdhsa_float_denorm_mode_16_64 3
		.amdhsa_dx10_clamp 1
		.amdhsa_ieee_mode 1
		.amdhsa_fp16_overflow 0
		.amdhsa_tg_split 0
		.amdhsa_exception_fp_ieee_invalid_op 0
		.amdhsa_exception_fp_denorm_src 0
		.amdhsa_exception_fp_ieee_div_zero 0
		.amdhsa_exception_fp_ieee_overflow 0
		.amdhsa_exception_fp_ieee_underflow 0
		.amdhsa_exception_fp_ieee_inexact 0
		.amdhsa_exception_int_div_zero 0
	.end_amdhsa_kernel
	.section	.text._ZN9rocsparseL13kernel_nrminfILj512E21rocsparse_complex_numIfEEEvmPKT0_PNS_15floating_traitsIS3_E6data_tEPKS8_,"axG",@progbits,_ZN9rocsparseL13kernel_nrminfILj512E21rocsparse_complex_numIfEEEvmPKT0_PNS_15floating_traitsIS3_E6data_tEPKS8_,comdat
.Lfunc_end91:
	.size	_ZN9rocsparseL13kernel_nrminfILj512E21rocsparse_complex_numIfEEEvmPKT0_PNS_15floating_traitsIS3_E6data_tEPKS8_, .Lfunc_end91-_ZN9rocsparseL13kernel_nrminfILj512E21rocsparse_complex_numIfEEEvmPKT0_PNS_15floating_traitsIS3_E6data_tEPKS8_
                                        ; -- End function
	.section	.AMDGPU.csdata,"",@progbits
; Kernel info:
; codeLenInByte = 1536
; NumSgprs: 20
; NumVgprs: 8
; NumAgprs: 0
; TotalNumVgprs: 8
; ScratchSize: 0
; MemoryBound: 0
; FloatMode: 240
; IeeeMode: 1
; LDSByteSize: 2048 bytes/workgroup (compile time only)
; SGPRBlocks: 2
; VGPRBlocks: 0
; NumSGPRsForWavesPerEU: 20
; NumVGPRsForWavesPerEU: 8
; AccumOffset: 8
; Occupancy: 8
; WaveLimiterHint : 0
; COMPUTE_PGM_RSRC2:SCRATCH_EN: 0
; COMPUTE_PGM_RSRC2:USER_SGPR: 6
; COMPUTE_PGM_RSRC2:TRAP_HANDLER: 0
; COMPUTE_PGM_RSRC2:TGID_X_EN: 1
; COMPUTE_PGM_RSRC2:TGID_Y_EN: 0
; COMPUTE_PGM_RSRC2:TGID_Z_EN: 0
; COMPUTE_PGM_RSRC2:TIDIG_COMP_CNT: 0
; COMPUTE_PGM_RSRC3_GFX90A:ACCUM_OFFSET: 1
; COMPUTE_PGM_RSRC3_GFX90A:TG_SPLIT: 0
	.section	.text._ZN9rocsparseL18kernel_nrminf_diffILj512E21rocsparse_complex_numIdEEEvmPKT0_S5_PNS_15floating_traitsIS3_E6data_tEPKS8_,"axG",@progbits,_ZN9rocsparseL18kernel_nrminf_diffILj512E21rocsparse_complex_numIdEEEvmPKT0_S5_PNS_15floating_traitsIS3_E6data_tEPKS8_,comdat
	.globl	_ZN9rocsparseL18kernel_nrminf_diffILj512E21rocsparse_complex_numIdEEEvmPKT0_S5_PNS_15floating_traitsIS3_E6data_tEPKS8_ ; -- Begin function _ZN9rocsparseL18kernel_nrminf_diffILj512E21rocsparse_complex_numIdEEEvmPKT0_S5_PNS_15floating_traitsIS3_E6data_tEPKS8_
	.p2align	8
	.type	_ZN9rocsparseL18kernel_nrminf_diffILj512E21rocsparse_complex_numIdEEEvmPKT0_S5_PNS_15floating_traitsIS3_E6data_tEPKS8_,@function
_ZN9rocsparseL18kernel_nrminf_diffILj512E21rocsparse_complex_numIdEEEvmPKT0_S5_PNS_15floating_traitsIS3_E6data_tEPKS8_: ; @_ZN9rocsparseL18kernel_nrminf_diffILj512E21rocsparse_complex_numIdEEEvmPKT0_S5_PNS_15floating_traitsIS3_E6data_tEPKS8_
; %bb.0:
	s_load_dwordx2 s[0:1], s[4:5], 0x0
	v_mov_b32_e32 v3, 0
	v_lshl_or_b32 v2, s6, 9, v0
	v_pk_mov_b32 v[6:7], 0, 0
	s_waitcnt lgkmcnt(0)
	v_cmp_gt_u64_e32 vcc, s[0:1], v[2:3]
	s_and_saveexec_b64 s[0:1], vcc
	s_cbranch_execz .LBB92_8
; %bb.1:
	s_load_dwordx4 s[8:11], s[4:5], 0x8
	v_lshlrev_b64 v[2:3], 4, v[2:3]
	s_waitcnt lgkmcnt(0)
	v_mov_b32_e32 v1, s9
	v_add_co_u32_e32 v10, vcc, s8, v2
	v_addc_co_u32_e32 v11, vcc, v1, v3, vcc
	v_mov_b32_e32 v1, s11
	v_add_co_u32_e32 v12, vcc, s10, v2
	v_addc_co_u32_e32 v13, vcc, v1, v3, vcc
	global_load_dwordx4 v[2:5], v[12:13], off
	global_load_dwordx4 v[6:9], v[10:11], off
	s_waitcnt vmcnt(0)
	v_add_f64 v[2:3], v[6:7], -v[2:3]
	v_add_f64 v[8:9], v[8:9], -v[4:5]
	v_xor_b32_e32 v1, 0x80000000, v3
	v_cmp_gt_f64_e32 vcc, 0, v[2:3]
	v_xor_b32_e32 v4, 0x80000000, v9
	v_cndmask_b32_e32 v3, v3, v1, vcc
	v_cndmask_b32_e32 v2, v2, v2, vcc
	v_cmp_gt_f64_e32 vcc, 0, v[8:9]
	v_cndmask_b32_e32 v5, v9, v4, vcc
	v_cndmask_b32_e32 v4, v8, v8, vcc
	v_cmp_ngt_f64_e32 vcc, v[2:3], v[4:5]
                                        ; implicit-def: $vgpr6_vgpr7
	s_and_saveexec_b64 s[2:3], vcc
	s_xor_b64 s[2:3], exec, s[2:3]
	s_cbranch_execz .LBB92_5
; %bb.2:
	v_cmp_neq_f64_e32 vcc, 0, v[8:9]
	v_pk_mov_b32 v[6:7], 0, 0
	s_and_saveexec_b64 s[6:7], vcc
	s_cbranch_execz .LBB92_4
; %bb.3:
	v_div_scale_f64 v[6:7], s[8:9], v[4:5], v[4:5], v[2:3]
	v_rcp_f64_e32 v[8:9], v[6:7]
	v_div_scale_f64 v[10:11], vcc, v[2:3], v[4:5], v[2:3]
	s_mov_b32 s8, 0
	v_fma_f64 v[12:13], -v[6:7], v[8:9], 1.0
	v_fmac_f64_e32 v[8:9], v[8:9], v[12:13]
	v_fma_f64 v[12:13], -v[6:7], v[8:9], 1.0
	v_fmac_f64_e32 v[8:9], v[8:9], v[12:13]
	v_mul_f64 v[12:13], v[10:11], v[8:9]
	v_fma_f64 v[6:7], -v[6:7], v[12:13], v[10:11]
	v_div_fmas_f64 v[6:7], v[6:7], v[8:9], v[12:13]
	v_div_fixup_f64 v[2:3], v[6:7], v[4:5], v[2:3]
	v_fma_f64 v[2:3], v[2:3], v[2:3], 1.0
	s_brev_b32 s9, 8
	v_cmp_gt_f64_e32 vcc, s[8:9], v[2:3]
	v_cndmask_b32_e64 v1, 0, 1, vcc
	v_lshlrev_b32_e32 v1, 8, v1
	v_ldexp_f64 v[2:3], v[2:3], v1
	v_rsq_f64_e32 v[6:7], v[2:3]
	v_mov_b32_e32 v1, 0xffffff80
	v_cndmask_b32_e32 v1, 0, v1, vcc
	v_mul_f64 v[8:9], v[2:3], v[6:7]
	v_mul_f64 v[6:7], v[6:7], 0.5
	v_fma_f64 v[10:11], -v[6:7], v[8:9], 0.5
	v_fmac_f64_e32 v[8:9], v[8:9], v[10:11]
	v_fma_f64 v[12:13], -v[8:9], v[8:9], v[2:3]
	v_fmac_f64_e32 v[6:7], v[6:7], v[10:11]
	v_fmac_f64_e32 v[8:9], v[12:13], v[6:7]
	v_fma_f64 v[10:11], -v[8:9], v[8:9], v[2:3]
	v_fmac_f64_e32 v[8:9], v[10:11], v[6:7]
	v_ldexp_f64 v[6:7], v[8:9], v1
	v_mov_b32_e32 v1, 0x260
	v_cmp_class_f64_e32 vcc, v[2:3], v1
	v_cndmask_b32_e32 v3, v7, v3, vcc
	v_cndmask_b32_e32 v2, v6, v2, vcc
	v_mul_f64 v[6:7], v[4:5], v[2:3]
.LBB92_4:
	s_or_b64 exec, exec, s[6:7]
                                        ; implicit-def: $vgpr2_vgpr3
                                        ; implicit-def: $vgpr4_vgpr5
.LBB92_5:
	s_andn2_saveexec_b64 s[2:3], s[2:3]
	s_cbranch_execz .LBB92_7
; %bb.6:
	v_div_scale_f64 v[6:7], s[6:7], v[2:3], v[2:3], v[4:5]
	v_rcp_f64_e32 v[8:9], v[6:7]
	v_div_scale_f64 v[10:11], vcc, v[4:5], v[2:3], v[4:5]
	s_mov_b32 s6, 0
	v_fma_f64 v[12:13], -v[6:7], v[8:9], 1.0
	v_fmac_f64_e32 v[8:9], v[8:9], v[12:13]
	v_fma_f64 v[12:13], -v[6:7], v[8:9], 1.0
	v_fmac_f64_e32 v[8:9], v[8:9], v[12:13]
	v_mul_f64 v[12:13], v[10:11], v[8:9]
	v_fma_f64 v[6:7], -v[6:7], v[12:13], v[10:11]
	v_div_fmas_f64 v[6:7], v[6:7], v[8:9], v[12:13]
	v_div_fixup_f64 v[4:5], v[6:7], v[2:3], v[4:5]
	v_fma_f64 v[4:5], v[4:5], v[4:5], 1.0
	s_brev_b32 s7, 8
	v_cmp_gt_f64_e32 vcc, s[6:7], v[4:5]
	v_cndmask_b32_e64 v1, 0, 1, vcc
	v_lshlrev_b32_e32 v1, 8, v1
	v_ldexp_f64 v[4:5], v[4:5], v1
	v_rsq_f64_e32 v[6:7], v[4:5]
	v_mov_b32_e32 v1, 0xffffff80
	v_cndmask_b32_e32 v1, 0, v1, vcc
	v_mul_f64 v[8:9], v[4:5], v[6:7]
	v_mul_f64 v[6:7], v[6:7], 0.5
	v_fma_f64 v[10:11], -v[6:7], v[8:9], 0.5
	v_fmac_f64_e32 v[8:9], v[8:9], v[10:11]
	v_fma_f64 v[12:13], -v[8:9], v[8:9], v[4:5]
	v_fmac_f64_e32 v[6:7], v[6:7], v[10:11]
	v_fmac_f64_e32 v[8:9], v[12:13], v[6:7]
	v_fma_f64 v[10:11], -v[8:9], v[8:9], v[4:5]
	v_fmac_f64_e32 v[8:9], v[10:11], v[6:7]
	v_ldexp_f64 v[6:7], v[8:9], v1
	v_mov_b32_e32 v1, 0x260
	v_cmp_class_f64_e32 vcc, v[4:5], v1
	v_cndmask_b32_e32 v5, v7, v5, vcc
	v_cndmask_b32_e32 v4, v6, v4, vcc
	v_mul_f64 v[6:7], v[2:3], v[4:5]
.LBB92_7:
	s_or_b64 exec, exec, s[2:3]
.LBB92_8:
	s_or_b64 exec, exec, s[0:1]
	s_movk_i32 s0, 0x100
	v_lshlrev_b32_e32 v1, 3, v0
	v_cmp_gt_u32_e32 vcc, s0, v0
	ds_write_b64 v1, v[6:7]
	s_waitcnt lgkmcnt(0)
	s_barrier
	s_and_saveexec_b64 s[0:1], vcc
	s_cbranch_execz .LBB92_10
; %bb.9:
	ds_read2st64_b64 v[2:5], v1 offset1:4
	s_waitcnt lgkmcnt(0)
	v_cmp_lt_f64_e32 vcc, v[2:3], v[4:5]
	v_cndmask_b32_e32 v3, v3, v5, vcc
	v_cndmask_b32_e32 v2, v2, v4, vcc
	ds_write_b64 v1, v[2:3]
.LBB92_10:
	s_or_b64 exec, exec, s[0:1]
	s_movk_i32 s0, 0x80
	v_cmp_gt_u32_e32 vcc, s0, v0
	s_waitcnt lgkmcnt(0)
	s_barrier
	s_and_saveexec_b64 s[0:1], vcc
	s_cbranch_execz .LBB92_12
; %bb.11:
	ds_read2st64_b64 v[2:5], v1 offset1:2
	s_waitcnt lgkmcnt(0)
	v_cmp_lt_f64_e32 vcc, v[2:3], v[4:5]
	v_cndmask_b32_e32 v3, v3, v5, vcc
	v_cndmask_b32_e32 v2, v2, v4, vcc
	ds_write_b64 v1, v[2:3]
.LBB92_12:
	s_or_b64 exec, exec, s[0:1]
	v_cmp_gt_u32_e32 vcc, 64, v0
	s_waitcnt lgkmcnt(0)
	s_barrier
	s_and_saveexec_b64 s[0:1], vcc
	s_cbranch_execz .LBB92_14
; %bb.13:
	ds_read2st64_b64 v[2:5], v1 offset1:1
	s_waitcnt lgkmcnt(0)
	v_cmp_lt_f64_e32 vcc, v[2:3], v[4:5]
	v_cndmask_b32_e32 v3, v3, v5, vcc
	v_cndmask_b32_e32 v2, v2, v4, vcc
	ds_write_b64 v1, v[2:3]
.LBB92_14:
	s_or_b64 exec, exec, s[0:1]
	v_cmp_gt_u32_e32 vcc, 32, v0
	s_waitcnt lgkmcnt(0)
	s_barrier
	s_and_saveexec_b64 s[0:1], vcc
	s_cbranch_execz .LBB92_16
; %bb.15:
	ds_read2_b64 v[2:5], v1 offset1:32
	s_waitcnt lgkmcnt(0)
	v_cmp_lt_f64_e32 vcc, v[2:3], v[4:5]
	v_cndmask_b32_e32 v3, v3, v5, vcc
	v_cndmask_b32_e32 v2, v2, v4, vcc
	ds_write_b64 v1, v[2:3]
.LBB92_16:
	s_or_b64 exec, exec, s[0:1]
	v_cmp_gt_u32_e32 vcc, 16, v0
	s_waitcnt lgkmcnt(0)
	s_barrier
	s_and_saveexec_b64 s[0:1], vcc
	s_cbranch_execz .LBB92_18
; %bb.17:
	ds_read2_b64 v[2:5], v1 offset1:16
	s_waitcnt lgkmcnt(0)
	v_cmp_lt_f64_e32 vcc, v[2:3], v[4:5]
	v_cndmask_b32_e32 v3, v3, v5, vcc
	v_cndmask_b32_e32 v2, v2, v4, vcc
	ds_write_b64 v1, v[2:3]
.LBB92_18:
	;; [unrolled: 14-line block ×5, first 2 shown]
	s_or_b64 exec, exec, s[0:1]
	v_cmp_eq_u32_e32 vcc, 0, v0
	s_waitcnt lgkmcnt(0)
	s_barrier
	s_and_saveexec_b64 s[2:3], vcc
	s_cbranch_execz .LBB92_26
; %bb.25:
	v_mov_b32_e32 v4, 0
	ds_read_b128 v[0:3], v4
	s_waitcnt lgkmcnt(0)
	v_cmp_lt_f64_e64 s[0:1], v[0:1], v[2:3]
	v_cndmask_b32_e64 v1, v1, v3, s[0:1]
	v_cndmask_b32_e64 v0, v0, v2, s[0:1]
	ds_write_b64 v4, v[0:1]
.LBB92_26:
	s_or_b64 exec, exec, s[2:3]
	s_waitcnt lgkmcnt(0)
	s_barrier
	s_and_saveexec_b64 s[0:1], vcc
	s_cbranch_execz .LBB92_38
; %bb.27:
	s_load_dwordx4 s[4:7], s[4:5], 0x18
	v_mov_b32_e32 v6, 0
	ds_read_b64 v[0:1], v6
	s_mov_b64 s[2:3], 0
	s_waitcnt lgkmcnt(0)
	s_cmp_eq_u64 s[6:7], 0
	s_cbranch_scc1 .LBB92_33
; %bb.28:
	s_load_dwordx2 s[0:1], s[6:7], 0x0
	global_load_dwordx2 v[4:5], v6, s[4:5] glc
                                        ; implicit-def: $sgpr8_sgpr9
	s_waitcnt lgkmcnt(0)
	v_div_scale_f64 v[2:3], s[6:7], s[0:1], s[0:1], v[0:1]
	v_rcp_f64_e32 v[8:9], v[2:3]
	v_div_scale_f64 v[10:11], vcc, v[0:1], s[0:1], v[0:1]
	s_mov_b32 s6, 0
	v_fma_f64 v[12:13], -v[2:3], v[8:9], 1.0
	v_fmac_f64_e32 v[8:9], v[8:9], v[12:13]
	v_fma_f64 v[12:13], -v[2:3], v[8:9], 1.0
	v_fmac_f64_e32 v[8:9], v[8:9], v[12:13]
	v_mul_f64 v[12:13], v[10:11], v[8:9]
	v_fma_f64 v[2:3], -v[2:3], v[12:13], v[10:11]
	v_div_fmas_f64 v[2:3], v[2:3], v[8:9], v[12:13]
	s_brev_b32 s7, 1
	v_div_fixup_f64 v[2:3], v[2:3], s[0:1], v[0:1]
	v_cmp_eq_f64_e32 vcc, 0, v[2:3]
	s_waitcnt vmcnt(0)
	v_cmp_eq_u64_e64 s[10:11], s[6:7], v[4:5]
                                        ; implicit-def: $sgpr6_sgpr7
	s_branch .LBB92_30
.LBB92_29:                              ;   in Loop: Header=BB92_30 Depth=1
	s_or_b64 exec, exec, s[12:13]
	s_and_b64 s[0:1], exec, s[6:7]
	s_or_b64 s[2:3], s[0:1], s[2:3]
	s_andn2_b64 s[0:1], s[10:11], exec
	s_and_b64 s[10:11], s[8:9], exec
	s_or_b64 s[10:11], s[0:1], s[10:11]
	s_andn2_b64 exec, exec, s[2:3]
	s_cbranch_execz .LBB92_32
.LBB92_30:                              ; =>This Inner Loop Header: Depth=1
	v_cmp_lt_f64_e64 s[0:1], v[4:5], v[2:3]
	s_and_b64 s[12:13], vcc, s[10:11]
	s_or_b64 s[0:1], s[0:1], s[12:13]
	s_andn2_b64 s[8:9], s[8:9], exec
	s_or_b64 s[6:7], s[6:7], exec
	s_and_saveexec_b64 s[12:13], s[0:1]
	s_cbranch_execz .LBB92_29
; %bb.31:                               ;   in Loop: Header=BB92_30 Depth=1
	global_atomic_cmpswap_x2 v[8:9], v6, v[2:5], s[4:5] glc
	s_andn2_b64 s[6:7], s[6:7], exec
	s_andn2_b64 s[8:9], s[8:9], exec
                                        ; implicit-def: $sgpr10_sgpr11
	s_waitcnt vmcnt(0)
	v_cmp_eq_u64_e64 s[0:1], v[8:9], v[4:5]
	v_cndmask_b32_e64 v5, v9, v5, s[0:1]
	v_cndmask_b32_e64 v4, v8, v4, s[0:1]
	s_and_b64 s[0:1], s[0:1], exec
	v_cmp_class_f64_e64 s[14:15], v[4:5], 32
	s_or_b64 s[6:7], s[6:7], s[0:1]
	s_and_b64 s[0:1], s[14:15], exec
	s_or_b64 s[8:9], s[8:9], s[0:1]
	v_pk_mov_b32 v[4:5], v[8:9], v[8:9] op_sel:[0,1]
	s_branch .LBB92_29
.LBB92_32:
	s_or_b64 exec, exec, s[2:3]
	s_branch .LBB92_38
.LBB92_33:
	s_cbranch_execz .LBB92_38
; %bb.34:
	v_mov_b32_e32 v4, 0
	global_load_dwordx2 v[2:3], v4, s[4:5] glc
	s_mov_b32 s0, 0
	s_brev_b32 s1, 1
	s_mov_b64 s[2:3], 0
	v_cmp_eq_f64_e32 vcc, 0, v[0:1]
                                        ; implicit-def: $sgpr6_sgpr7
                                        ; implicit-def: $sgpr8_sgpr9
	s_waitcnt vmcnt(0)
	v_cmp_eq_u64_e64 s[10:11], s[0:1], v[2:3]
	s_branch .LBB92_36
.LBB92_35:                              ;   in Loop: Header=BB92_36 Depth=1
	s_or_b64 exec, exec, s[12:13]
	s_and_b64 s[0:1], exec, s[6:7]
	s_or_b64 s[2:3], s[0:1], s[2:3]
	s_andn2_b64 s[0:1], s[10:11], exec
	s_and_b64 s[10:11], s[8:9], exec
	s_or_b64 s[10:11], s[0:1], s[10:11]
	s_andn2_b64 exec, exec, s[2:3]
	s_cbranch_execz .LBB92_38
.LBB92_36:                              ; =>This Inner Loop Header: Depth=1
	v_cmp_lt_f64_e64 s[0:1], v[2:3], v[0:1]
	s_and_b64 s[12:13], vcc, s[10:11]
	s_or_b64 s[0:1], s[0:1], s[12:13]
	s_andn2_b64 s[8:9], s[8:9], exec
	s_or_b64 s[6:7], s[6:7], exec
	s_and_saveexec_b64 s[12:13], s[0:1]
	s_cbranch_execz .LBB92_35
; %bb.37:                               ;   in Loop: Header=BB92_36 Depth=1
	global_atomic_cmpswap_x2 v[6:7], v4, v[0:3], s[4:5] glc
	s_andn2_b64 s[6:7], s[6:7], exec
	s_andn2_b64 s[8:9], s[8:9], exec
                                        ; implicit-def: $sgpr10_sgpr11
	s_waitcnt vmcnt(0)
	v_cmp_eq_u64_e64 s[0:1], v[6:7], v[2:3]
	v_cndmask_b32_e64 v3, v7, v3, s[0:1]
	v_cndmask_b32_e64 v2, v6, v2, s[0:1]
	s_and_b64 s[0:1], s[0:1], exec
	v_cmp_class_f64_e64 s[14:15], v[2:3], 32
	s_or_b64 s[6:7], s[6:7], s[0:1]
	s_and_b64 s[0:1], s[14:15], exec
	s_or_b64 s[8:9], s[8:9], s[0:1]
	v_pk_mov_b32 v[2:3], v[6:7], v[6:7] op_sel:[0,1]
	s_branch .LBB92_35
.LBB92_38:
	s_endpgm
	.section	.rodata,"a",@progbits
	.p2align	6, 0x0
	.amdhsa_kernel _ZN9rocsparseL18kernel_nrminf_diffILj512E21rocsparse_complex_numIdEEEvmPKT0_S5_PNS_15floating_traitsIS3_E6data_tEPKS8_
		.amdhsa_group_segment_fixed_size 4096
		.amdhsa_private_segment_fixed_size 0
		.amdhsa_kernarg_size 40
		.amdhsa_user_sgpr_count 6
		.amdhsa_user_sgpr_private_segment_buffer 1
		.amdhsa_user_sgpr_dispatch_ptr 0
		.amdhsa_user_sgpr_queue_ptr 0
		.amdhsa_user_sgpr_kernarg_segment_ptr 1
		.amdhsa_user_sgpr_dispatch_id 0
		.amdhsa_user_sgpr_flat_scratch_init 0
		.amdhsa_user_sgpr_kernarg_preload_length 0
		.amdhsa_user_sgpr_kernarg_preload_offset 0
		.amdhsa_user_sgpr_private_segment_size 0
		.amdhsa_uses_dynamic_stack 0
		.amdhsa_system_sgpr_private_segment_wavefront_offset 0
		.amdhsa_system_sgpr_workgroup_id_x 1
		.amdhsa_system_sgpr_workgroup_id_y 0
		.amdhsa_system_sgpr_workgroup_id_z 0
		.amdhsa_system_sgpr_workgroup_info 0
		.amdhsa_system_vgpr_workitem_id 0
		.amdhsa_next_free_vgpr 14
		.amdhsa_next_free_sgpr 16
		.amdhsa_accum_offset 16
		.amdhsa_reserve_vcc 1
		.amdhsa_reserve_flat_scratch 0
		.amdhsa_float_round_mode_32 0
		.amdhsa_float_round_mode_16_64 0
		.amdhsa_float_denorm_mode_32 3
		.amdhsa_float_denorm_mode_16_64 3
		.amdhsa_dx10_clamp 1
		.amdhsa_ieee_mode 1
		.amdhsa_fp16_overflow 0
		.amdhsa_tg_split 0
		.amdhsa_exception_fp_ieee_invalid_op 0
		.amdhsa_exception_fp_denorm_src 0
		.amdhsa_exception_fp_ieee_div_zero 0
		.amdhsa_exception_fp_ieee_overflow 0
		.amdhsa_exception_fp_ieee_underflow 0
		.amdhsa_exception_fp_ieee_inexact 0
		.amdhsa_exception_int_div_zero 0
	.end_amdhsa_kernel
	.section	.text._ZN9rocsparseL18kernel_nrminf_diffILj512E21rocsparse_complex_numIdEEEvmPKT0_S5_PNS_15floating_traitsIS3_E6data_tEPKS8_,"axG",@progbits,_ZN9rocsparseL18kernel_nrminf_diffILj512E21rocsparse_complex_numIdEEEvmPKT0_S5_PNS_15floating_traitsIS3_E6data_tEPKS8_,comdat
.Lfunc_end92:
	.size	_ZN9rocsparseL18kernel_nrminf_diffILj512E21rocsparse_complex_numIdEEEvmPKT0_S5_PNS_15floating_traitsIS3_E6data_tEPKS8_, .Lfunc_end92-_ZN9rocsparseL18kernel_nrminf_diffILj512E21rocsparse_complex_numIdEEEvmPKT0_S5_PNS_15floating_traitsIS3_E6data_tEPKS8_
                                        ; -- End function
	.section	.AMDGPU.csdata,"",@progbits
; Kernel info:
; codeLenInByte = 1732
; NumSgprs: 20
; NumVgprs: 14
; NumAgprs: 0
; TotalNumVgprs: 14
; ScratchSize: 0
; MemoryBound: 0
; FloatMode: 240
; IeeeMode: 1
; LDSByteSize: 4096 bytes/workgroup (compile time only)
; SGPRBlocks: 2
; VGPRBlocks: 1
; NumSGPRsForWavesPerEU: 20
; NumVGPRsForWavesPerEU: 14
; AccumOffset: 16
; Occupancy: 8
; WaveLimiterHint : 0
; COMPUTE_PGM_RSRC2:SCRATCH_EN: 0
; COMPUTE_PGM_RSRC2:USER_SGPR: 6
; COMPUTE_PGM_RSRC2:TRAP_HANDLER: 0
; COMPUTE_PGM_RSRC2:TGID_X_EN: 1
; COMPUTE_PGM_RSRC2:TGID_Y_EN: 0
; COMPUTE_PGM_RSRC2:TGID_Z_EN: 0
; COMPUTE_PGM_RSRC2:TIDIG_COMP_CNT: 0
; COMPUTE_PGM_RSRC3_GFX90A:ACCUM_OFFSET: 3
; COMPUTE_PGM_RSRC3_GFX90A:TG_SPLIT: 0
	.section	.text._ZN9rocsparseL13kernel_nrminfILj512E21rocsparse_complex_numIdEEEvmPKT0_PNS_15floating_traitsIS3_E6data_tEPKS8_,"axG",@progbits,_ZN9rocsparseL13kernel_nrminfILj512E21rocsparse_complex_numIdEEEvmPKT0_PNS_15floating_traitsIS3_E6data_tEPKS8_,comdat
	.globl	_ZN9rocsparseL13kernel_nrminfILj512E21rocsparse_complex_numIdEEEvmPKT0_PNS_15floating_traitsIS3_E6data_tEPKS8_ ; -- Begin function _ZN9rocsparseL13kernel_nrminfILj512E21rocsparse_complex_numIdEEEvmPKT0_PNS_15floating_traitsIS3_E6data_tEPKS8_
	.p2align	8
	.type	_ZN9rocsparseL13kernel_nrminfILj512E21rocsparse_complex_numIdEEEvmPKT0_PNS_15floating_traitsIS3_E6data_tEPKS8_,@function
_ZN9rocsparseL13kernel_nrminfILj512E21rocsparse_complex_numIdEEEvmPKT0_PNS_15floating_traitsIS3_E6data_tEPKS8_: ; @_ZN9rocsparseL13kernel_nrminfILj512E21rocsparse_complex_numIdEEEvmPKT0_PNS_15floating_traitsIS3_E6data_tEPKS8_
; %bb.0:
	s_load_dwordx2 s[0:1], s[4:5], 0x0
	v_mov_b32_e32 v3, 0
	v_lshl_or_b32 v2, s6, 9, v0
	v_pk_mov_b32 v[8:9], 0, 0
	s_waitcnt lgkmcnt(0)
	v_cmp_gt_u64_e32 vcc, s[0:1], v[2:3]
	s_and_saveexec_b64 s[0:1], vcc
	s_cbranch_execz .LBB93_8
; %bb.1:
	s_load_dwordx2 s[2:3], s[4:5], 0x8
	v_lshlrev_b64 v[2:3], 4, v[2:3]
                                        ; implicit-def: $vgpr8_vgpr9
	s_waitcnt lgkmcnt(0)
	v_mov_b32_e32 v1, s3
	v_add_co_u32_e32 v2, vcc, s2, v2
	v_addc_co_u32_e32 v3, vcc, v1, v3, vcc
	global_load_dwordx4 v[2:5], v[2:3], off
	s_waitcnt vmcnt(0)
	v_xor_b32_e32 v1, 0x80000000, v3
	v_cmp_gt_f64_e32 vcc, 0, v[2:3]
	v_xor_b32_e32 v6, 0x80000000, v5
	v_cndmask_b32_e32 v3, v3, v1, vcc
	v_cmp_gt_f64_e32 vcc, 0, v[4:5]
	v_cndmask_b32_e32 v7, v5, v6, vcc
	v_mov_b32_e32 v6, v4
	v_cmp_ngt_f64_e32 vcc, v[2:3], v[6:7]
	s_and_saveexec_b64 s[2:3], vcc
	s_xor_b64 s[2:3], exec, s[2:3]
	s_cbranch_execz .LBB93_5
; %bb.2:
	v_cmp_neq_f64_e32 vcc, 0, v[4:5]
	v_pk_mov_b32 v[8:9], 0, 0
	s_and_saveexec_b64 s[6:7], vcc
	s_cbranch_execz .LBB93_4
; %bb.3:
	v_div_scale_f64 v[4:5], s[8:9], v[6:7], v[6:7], v[2:3]
	v_rcp_f64_e32 v[8:9], v[4:5]
	v_div_scale_f64 v[10:11], vcc, v[2:3], v[6:7], v[2:3]
	s_mov_b32 s8, 0
	v_fma_f64 v[12:13], -v[4:5], v[8:9], 1.0
	v_fmac_f64_e32 v[8:9], v[8:9], v[12:13]
	v_fma_f64 v[12:13], -v[4:5], v[8:9], 1.0
	v_fmac_f64_e32 v[8:9], v[8:9], v[12:13]
	v_mul_f64 v[12:13], v[10:11], v[8:9]
	v_fma_f64 v[4:5], -v[4:5], v[12:13], v[10:11]
	v_div_fmas_f64 v[4:5], v[4:5], v[8:9], v[12:13]
	v_div_fixup_f64 v[2:3], v[4:5], v[6:7], v[2:3]
	v_fma_f64 v[2:3], v[2:3], v[2:3], 1.0
	s_brev_b32 s9, 8
	v_cmp_gt_f64_e32 vcc, s[8:9], v[2:3]
	v_cndmask_b32_e64 v1, 0, 1, vcc
	v_lshlrev_b32_e32 v1, 8, v1
	v_ldexp_f64 v[2:3], v[2:3], v1
	v_rsq_f64_e32 v[4:5], v[2:3]
	v_mov_b32_e32 v1, 0xffffff80
	v_cndmask_b32_e32 v1, 0, v1, vcc
	v_mul_f64 v[8:9], v[2:3], v[4:5]
	v_mul_f64 v[4:5], v[4:5], 0.5
	v_fma_f64 v[10:11], -v[4:5], v[8:9], 0.5
	v_fmac_f64_e32 v[8:9], v[8:9], v[10:11]
	v_fma_f64 v[12:13], -v[8:9], v[8:9], v[2:3]
	v_fmac_f64_e32 v[4:5], v[4:5], v[10:11]
	v_fmac_f64_e32 v[8:9], v[12:13], v[4:5]
	v_fma_f64 v[10:11], -v[8:9], v[8:9], v[2:3]
	v_fmac_f64_e32 v[8:9], v[10:11], v[4:5]
	v_ldexp_f64 v[4:5], v[8:9], v1
	v_mov_b32_e32 v1, 0x260
	v_cmp_class_f64_e32 vcc, v[2:3], v1
	v_cndmask_b32_e32 v3, v5, v3, vcc
	v_cndmask_b32_e32 v2, v4, v2, vcc
	v_mul_f64 v[8:9], v[6:7], v[2:3]
.LBB93_4:
	s_or_b64 exec, exec, s[6:7]
                                        ; implicit-def: $vgpr2_vgpr3
                                        ; implicit-def: $vgpr6_vgpr7
.LBB93_5:
	s_andn2_saveexec_b64 s[2:3], s[2:3]
	s_cbranch_execz .LBB93_7
; %bb.6:
	v_div_scale_f64 v[4:5], s[6:7], v[2:3], v[2:3], v[6:7]
	v_rcp_f64_e32 v[8:9], v[4:5]
	v_div_scale_f64 v[10:11], vcc, v[6:7], v[2:3], v[6:7]
	s_mov_b32 s6, 0
	v_fma_f64 v[12:13], -v[4:5], v[8:9], 1.0
	v_fmac_f64_e32 v[8:9], v[8:9], v[12:13]
	v_fma_f64 v[12:13], -v[4:5], v[8:9], 1.0
	v_fmac_f64_e32 v[8:9], v[8:9], v[12:13]
	v_mul_f64 v[12:13], v[10:11], v[8:9]
	v_fma_f64 v[4:5], -v[4:5], v[12:13], v[10:11]
	v_div_fmas_f64 v[4:5], v[4:5], v[8:9], v[12:13]
	v_div_fixup_f64 v[4:5], v[4:5], v[2:3], v[6:7]
	v_fma_f64 v[4:5], v[4:5], v[4:5], 1.0
	s_brev_b32 s7, 8
	v_cmp_gt_f64_e32 vcc, s[6:7], v[4:5]
	v_cndmask_b32_e64 v1, 0, 1, vcc
	v_lshlrev_b32_e32 v1, 8, v1
	v_ldexp_f64 v[4:5], v[4:5], v1
	v_rsq_f64_e32 v[6:7], v[4:5]
	v_mov_b32_e32 v1, 0xffffff80
	v_cndmask_b32_e32 v1, 0, v1, vcc
	v_mul_f64 v[8:9], v[4:5], v[6:7]
	v_mul_f64 v[6:7], v[6:7], 0.5
	v_fma_f64 v[10:11], -v[6:7], v[8:9], 0.5
	v_fmac_f64_e32 v[8:9], v[8:9], v[10:11]
	v_fma_f64 v[12:13], -v[8:9], v[8:9], v[4:5]
	v_fmac_f64_e32 v[6:7], v[6:7], v[10:11]
	v_fmac_f64_e32 v[8:9], v[12:13], v[6:7]
	v_fma_f64 v[10:11], -v[8:9], v[8:9], v[4:5]
	v_fmac_f64_e32 v[8:9], v[10:11], v[6:7]
	v_ldexp_f64 v[6:7], v[8:9], v1
	v_mov_b32_e32 v1, 0x260
	v_cmp_class_f64_e32 vcc, v[4:5], v1
	v_cndmask_b32_e32 v5, v7, v5, vcc
	v_cndmask_b32_e32 v4, v6, v4, vcc
	v_mul_f64 v[8:9], v[2:3], v[4:5]
.LBB93_7:
	s_or_b64 exec, exec, s[2:3]
.LBB93_8:
	s_or_b64 exec, exec, s[0:1]
	s_movk_i32 s0, 0x100
	v_lshlrev_b32_e32 v1, 3, v0
	v_cmp_gt_u32_e32 vcc, s0, v0
	ds_write_b64 v1, v[8:9]
	s_waitcnt lgkmcnt(0)
	s_barrier
	s_and_saveexec_b64 s[0:1], vcc
	s_cbranch_execz .LBB93_10
; %bb.9:
	ds_read2st64_b64 v[2:5], v1 offset1:4
	s_waitcnt lgkmcnt(0)
	v_cmp_lt_f64_e32 vcc, v[2:3], v[4:5]
	v_cndmask_b32_e32 v3, v3, v5, vcc
	v_cndmask_b32_e32 v2, v2, v4, vcc
	ds_write_b64 v1, v[2:3]
.LBB93_10:
	s_or_b64 exec, exec, s[0:1]
	s_movk_i32 s0, 0x80
	v_cmp_gt_u32_e32 vcc, s0, v0
	s_waitcnt lgkmcnt(0)
	s_barrier
	s_and_saveexec_b64 s[0:1], vcc
	s_cbranch_execz .LBB93_12
; %bb.11:
	ds_read2st64_b64 v[2:5], v1 offset1:2
	s_waitcnt lgkmcnt(0)
	v_cmp_lt_f64_e32 vcc, v[2:3], v[4:5]
	v_cndmask_b32_e32 v3, v3, v5, vcc
	v_cndmask_b32_e32 v2, v2, v4, vcc
	ds_write_b64 v1, v[2:3]
.LBB93_12:
	s_or_b64 exec, exec, s[0:1]
	v_cmp_gt_u32_e32 vcc, 64, v0
	s_waitcnt lgkmcnt(0)
	s_barrier
	s_and_saveexec_b64 s[0:1], vcc
	s_cbranch_execz .LBB93_14
; %bb.13:
	ds_read2st64_b64 v[2:5], v1 offset1:1
	s_waitcnt lgkmcnt(0)
	v_cmp_lt_f64_e32 vcc, v[2:3], v[4:5]
	v_cndmask_b32_e32 v3, v3, v5, vcc
	v_cndmask_b32_e32 v2, v2, v4, vcc
	ds_write_b64 v1, v[2:3]
.LBB93_14:
	s_or_b64 exec, exec, s[0:1]
	v_cmp_gt_u32_e32 vcc, 32, v0
	s_waitcnt lgkmcnt(0)
	s_barrier
	s_and_saveexec_b64 s[0:1], vcc
	s_cbranch_execz .LBB93_16
; %bb.15:
	ds_read2_b64 v[2:5], v1 offset1:32
	s_waitcnt lgkmcnt(0)
	v_cmp_lt_f64_e32 vcc, v[2:3], v[4:5]
	v_cndmask_b32_e32 v3, v3, v5, vcc
	v_cndmask_b32_e32 v2, v2, v4, vcc
	ds_write_b64 v1, v[2:3]
.LBB93_16:
	s_or_b64 exec, exec, s[0:1]
	v_cmp_gt_u32_e32 vcc, 16, v0
	s_waitcnt lgkmcnt(0)
	s_barrier
	s_and_saveexec_b64 s[0:1], vcc
	s_cbranch_execz .LBB93_18
; %bb.17:
	ds_read2_b64 v[2:5], v1 offset1:16
	s_waitcnt lgkmcnt(0)
	v_cmp_lt_f64_e32 vcc, v[2:3], v[4:5]
	v_cndmask_b32_e32 v3, v3, v5, vcc
	v_cndmask_b32_e32 v2, v2, v4, vcc
	ds_write_b64 v1, v[2:3]
.LBB93_18:
	;; [unrolled: 14-line block ×5, first 2 shown]
	s_or_b64 exec, exec, s[0:1]
	v_cmp_eq_u32_e32 vcc, 0, v0
	s_waitcnt lgkmcnt(0)
	s_barrier
	s_and_saveexec_b64 s[2:3], vcc
	s_cbranch_execz .LBB93_26
; %bb.25:
	v_mov_b32_e32 v4, 0
	ds_read_b128 v[0:3], v4
	s_waitcnt lgkmcnt(0)
	v_cmp_lt_f64_e64 s[0:1], v[0:1], v[2:3]
	v_cndmask_b32_e64 v1, v1, v3, s[0:1]
	v_cndmask_b32_e64 v0, v0, v2, s[0:1]
	ds_write_b64 v4, v[0:1]
.LBB93_26:
	s_or_b64 exec, exec, s[2:3]
	s_waitcnt lgkmcnt(0)
	s_barrier
	s_and_saveexec_b64 s[0:1], vcc
	s_cbranch_execz .LBB93_38
; %bb.27:
	s_load_dwordx4 s[4:7], s[4:5], 0x10
	v_mov_b32_e32 v6, 0
	ds_read_b64 v[0:1], v6
	s_mov_b64 s[2:3], 0
	s_waitcnt lgkmcnt(0)
	s_cmp_eq_u64 s[6:7], 0
	s_cbranch_scc1 .LBB93_33
; %bb.28:
	s_load_dwordx2 s[0:1], s[6:7], 0x0
	global_load_dwordx2 v[4:5], v6, s[4:5] glc
                                        ; implicit-def: $sgpr8_sgpr9
	s_waitcnt lgkmcnt(0)
	v_div_scale_f64 v[2:3], s[6:7], s[0:1], s[0:1], v[0:1]
	v_rcp_f64_e32 v[8:9], v[2:3]
	v_div_scale_f64 v[10:11], vcc, v[0:1], s[0:1], v[0:1]
	s_mov_b32 s6, 0
	v_fma_f64 v[12:13], -v[2:3], v[8:9], 1.0
	v_fmac_f64_e32 v[8:9], v[8:9], v[12:13]
	v_fma_f64 v[12:13], -v[2:3], v[8:9], 1.0
	v_fmac_f64_e32 v[8:9], v[8:9], v[12:13]
	v_mul_f64 v[12:13], v[10:11], v[8:9]
	v_fma_f64 v[2:3], -v[2:3], v[12:13], v[10:11]
	v_div_fmas_f64 v[2:3], v[2:3], v[8:9], v[12:13]
	s_brev_b32 s7, 1
	v_div_fixup_f64 v[2:3], v[2:3], s[0:1], v[0:1]
	v_cmp_eq_f64_e32 vcc, 0, v[2:3]
	s_waitcnt vmcnt(0)
	v_cmp_eq_u64_e64 s[10:11], s[6:7], v[4:5]
                                        ; implicit-def: $sgpr6_sgpr7
	s_branch .LBB93_30
.LBB93_29:                              ;   in Loop: Header=BB93_30 Depth=1
	s_or_b64 exec, exec, s[12:13]
	s_and_b64 s[0:1], exec, s[6:7]
	s_or_b64 s[2:3], s[0:1], s[2:3]
	s_andn2_b64 s[0:1], s[10:11], exec
	s_and_b64 s[10:11], s[8:9], exec
	s_or_b64 s[10:11], s[0:1], s[10:11]
	s_andn2_b64 exec, exec, s[2:3]
	s_cbranch_execz .LBB93_32
.LBB93_30:                              ; =>This Inner Loop Header: Depth=1
	v_cmp_lt_f64_e64 s[0:1], v[4:5], v[2:3]
	s_and_b64 s[12:13], vcc, s[10:11]
	s_or_b64 s[0:1], s[0:1], s[12:13]
	s_andn2_b64 s[8:9], s[8:9], exec
	s_or_b64 s[6:7], s[6:7], exec
	s_and_saveexec_b64 s[12:13], s[0:1]
	s_cbranch_execz .LBB93_29
; %bb.31:                               ;   in Loop: Header=BB93_30 Depth=1
	global_atomic_cmpswap_x2 v[8:9], v6, v[2:5], s[4:5] glc
	s_andn2_b64 s[6:7], s[6:7], exec
	s_andn2_b64 s[8:9], s[8:9], exec
                                        ; implicit-def: $sgpr10_sgpr11
	s_waitcnt vmcnt(0)
	v_cmp_eq_u64_e64 s[0:1], v[8:9], v[4:5]
	v_cndmask_b32_e64 v5, v9, v5, s[0:1]
	v_cndmask_b32_e64 v4, v8, v4, s[0:1]
	s_and_b64 s[0:1], s[0:1], exec
	v_cmp_class_f64_e64 s[14:15], v[4:5], 32
	s_or_b64 s[6:7], s[6:7], s[0:1]
	s_and_b64 s[0:1], s[14:15], exec
	s_or_b64 s[8:9], s[8:9], s[0:1]
	v_pk_mov_b32 v[4:5], v[8:9], v[8:9] op_sel:[0,1]
	s_branch .LBB93_29
.LBB93_32:
	s_or_b64 exec, exec, s[2:3]
	s_branch .LBB93_38
.LBB93_33:
	s_cbranch_execz .LBB93_38
; %bb.34:
	v_mov_b32_e32 v4, 0
	global_load_dwordx2 v[2:3], v4, s[4:5] glc
	s_mov_b32 s0, 0
	s_brev_b32 s1, 1
	s_mov_b64 s[2:3], 0
	v_cmp_eq_f64_e32 vcc, 0, v[0:1]
                                        ; implicit-def: $sgpr6_sgpr7
                                        ; implicit-def: $sgpr8_sgpr9
	s_waitcnt vmcnt(0)
	v_cmp_eq_u64_e64 s[10:11], s[0:1], v[2:3]
	s_branch .LBB93_36
.LBB93_35:                              ;   in Loop: Header=BB93_36 Depth=1
	s_or_b64 exec, exec, s[12:13]
	s_and_b64 s[0:1], exec, s[6:7]
	s_or_b64 s[2:3], s[0:1], s[2:3]
	s_andn2_b64 s[0:1], s[10:11], exec
	s_and_b64 s[10:11], s[8:9], exec
	s_or_b64 s[10:11], s[0:1], s[10:11]
	s_andn2_b64 exec, exec, s[2:3]
	s_cbranch_execz .LBB93_38
.LBB93_36:                              ; =>This Inner Loop Header: Depth=1
	v_cmp_lt_f64_e64 s[0:1], v[2:3], v[0:1]
	s_and_b64 s[12:13], vcc, s[10:11]
	s_or_b64 s[0:1], s[0:1], s[12:13]
	s_andn2_b64 s[8:9], s[8:9], exec
	s_or_b64 s[6:7], s[6:7], exec
	s_and_saveexec_b64 s[12:13], s[0:1]
	s_cbranch_execz .LBB93_35
; %bb.37:                               ;   in Loop: Header=BB93_36 Depth=1
	global_atomic_cmpswap_x2 v[6:7], v4, v[0:3], s[4:5] glc
	s_andn2_b64 s[6:7], s[6:7], exec
	s_andn2_b64 s[8:9], s[8:9], exec
                                        ; implicit-def: $sgpr10_sgpr11
	s_waitcnt vmcnt(0)
	v_cmp_eq_u64_e64 s[0:1], v[6:7], v[2:3]
	v_cndmask_b32_e64 v3, v7, v3, s[0:1]
	v_cndmask_b32_e64 v2, v6, v2, s[0:1]
	s_and_b64 s[0:1], s[0:1], exec
	v_cmp_class_f64_e64 s[14:15], v[2:3], 32
	s_or_b64 s[6:7], s[6:7], s[0:1]
	s_and_b64 s[0:1], s[14:15], exec
	s_or_b64 s[8:9], s[8:9], s[0:1]
	v_pk_mov_b32 v[2:3], v[6:7], v[6:7] op_sel:[0,1]
	s_branch .LBB93_35
.LBB93_38:
	s_endpgm
	.section	.rodata,"a",@progbits
	.p2align	6, 0x0
	.amdhsa_kernel _ZN9rocsparseL13kernel_nrminfILj512E21rocsparse_complex_numIdEEEvmPKT0_PNS_15floating_traitsIS3_E6data_tEPKS8_
		.amdhsa_group_segment_fixed_size 4096
		.amdhsa_private_segment_fixed_size 0
		.amdhsa_kernarg_size 32
		.amdhsa_user_sgpr_count 6
		.amdhsa_user_sgpr_private_segment_buffer 1
		.amdhsa_user_sgpr_dispatch_ptr 0
		.amdhsa_user_sgpr_queue_ptr 0
		.amdhsa_user_sgpr_kernarg_segment_ptr 1
		.amdhsa_user_sgpr_dispatch_id 0
		.amdhsa_user_sgpr_flat_scratch_init 0
		.amdhsa_user_sgpr_kernarg_preload_length 0
		.amdhsa_user_sgpr_kernarg_preload_offset 0
		.amdhsa_user_sgpr_private_segment_size 0
		.amdhsa_uses_dynamic_stack 0
		.amdhsa_system_sgpr_private_segment_wavefront_offset 0
		.amdhsa_system_sgpr_workgroup_id_x 1
		.amdhsa_system_sgpr_workgroup_id_y 0
		.amdhsa_system_sgpr_workgroup_id_z 0
		.amdhsa_system_sgpr_workgroup_info 0
		.amdhsa_system_vgpr_workitem_id 0
		.amdhsa_next_free_vgpr 14
		.amdhsa_next_free_sgpr 16
		.amdhsa_accum_offset 16
		.amdhsa_reserve_vcc 1
		.amdhsa_reserve_flat_scratch 0
		.amdhsa_float_round_mode_32 0
		.amdhsa_float_round_mode_16_64 0
		.amdhsa_float_denorm_mode_32 3
		.amdhsa_float_denorm_mode_16_64 3
		.amdhsa_dx10_clamp 1
		.amdhsa_ieee_mode 1
		.amdhsa_fp16_overflow 0
		.amdhsa_tg_split 0
		.amdhsa_exception_fp_ieee_invalid_op 0
		.amdhsa_exception_fp_denorm_src 0
		.amdhsa_exception_fp_ieee_div_zero 0
		.amdhsa_exception_fp_ieee_overflow 0
		.amdhsa_exception_fp_ieee_underflow 0
		.amdhsa_exception_fp_ieee_inexact 0
		.amdhsa_exception_int_div_zero 0
	.end_amdhsa_kernel
	.section	.text._ZN9rocsparseL13kernel_nrminfILj512E21rocsparse_complex_numIdEEEvmPKT0_PNS_15floating_traitsIS3_E6data_tEPKS8_,"axG",@progbits,_ZN9rocsparseL13kernel_nrminfILj512E21rocsparse_complex_numIdEEEvmPKT0_PNS_15floating_traitsIS3_E6data_tEPKS8_,comdat
.Lfunc_end93:
	.size	_ZN9rocsparseL13kernel_nrminfILj512E21rocsparse_complex_numIdEEEvmPKT0_PNS_15floating_traitsIS3_E6data_tEPKS8_, .Lfunc_end93-_ZN9rocsparseL13kernel_nrminfILj512E21rocsparse_complex_numIdEEEvmPKT0_PNS_15floating_traitsIS3_E6data_tEPKS8_
                                        ; -- End function
	.section	.AMDGPU.csdata,"",@progbits
; Kernel info:
; codeLenInByte = 1692
; NumSgprs: 20
; NumVgprs: 14
; NumAgprs: 0
; TotalNumVgprs: 14
; ScratchSize: 0
; MemoryBound: 0
; FloatMode: 240
; IeeeMode: 1
; LDSByteSize: 4096 bytes/workgroup (compile time only)
; SGPRBlocks: 2
; VGPRBlocks: 1
; NumSGPRsForWavesPerEU: 20
; NumVGPRsForWavesPerEU: 14
; AccumOffset: 16
; Occupancy: 8
; WaveLimiterHint : 0
; COMPUTE_PGM_RSRC2:SCRATCH_EN: 0
; COMPUTE_PGM_RSRC2:USER_SGPR: 6
; COMPUTE_PGM_RSRC2:TRAP_HANDLER: 0
; COMPUTE_PGM_RSRC2:TGID_X_EN: 1
; COMPUTE_PGM_RSRC2:TGID_Y_EN: 0
; COMPUTE_PGM_RSRC2:TGID_Z_EN: 0
; COMPUTE_PGM_RSRC2:TIDIG_COMP_CNT: 0
; COMPUTE_PGM_RSRC3_GFX90A:ACCUM_OFFSET: 3
; COMPUTE_PGM_RSRC3_GFX90A:TG_SPLIT: 0
	.section	.text._ZN9rocsparseL18kernel_nrminf_diffILj256EfEEvmPKT0_S3_PNS_15floating_traitsIS1_E6data_tEPKS6_,"axG",@progbits,_ZN9rocsparseL18kernel_nrminf_diffILj256EfEEvmPKT0_S3_PNS_15floating_traitsIS1_E6data_tEPKS6_,comdat
	.globl	_ZN9rocsparseL18kernel_nrminf_diffILj256EfEEvmPKT0_S3_PNS_15floating_traitsIS1_E6data_tEPKS6_ ; -- Begin function _ZN9rocsparseL18kernel_nrminf_diffILj256EfEEvmPKT0_S3_PNS_15floating_traitsIS1_E6data_tEPKS6_
	.p2align	8
	.type	_ZN9rocsparseL18kernel_nrminf_diffILj256EfEEvmPKT0_S3_PNS_15floating_traitsIS1_E6data_tEPKS6_,@function
_ZN9rocsparseL18kernel_nrminf_diffILj256EfEEvmPKT0_S3_PNS_15floating_traitsIS1_E6data_tEPKS6_: ; @_ZN9rocsparseL18kernel_nrminf_diffILj256EfEEvmPKT0_S3_PNS_15floating_traitsIS1_E6data_tEPKS6_
; %bb.0:
	s_load_dwordx2 s[0:1], s[4:5], 0x0
	v_lshl_or_b32 v2, s6, 8, v0
	v_mov_b32_e32 v3, 0
	s_waitcnt lgkmcnt(0)
	v_cmp_gt_u64_e32 vcc, s[0:1], v[2:3]
	s_and_saveexec_b64 s[0:1], vcc
	s_cbranch_execz .LBB94_2
; %bb.1:
	s_load_dwordx4 s[8:11], s[4:5], 0x8
	v_lshlrev_b64 v[2:3], 2, v[2:3]
	s_waitcnt lgkmcnt(0)
	v_mov_b32_e32 v1, s11
	v_add_co_u32_e32 v4, vcc, s10, v2
	v_addc_co_u32_e32 v5, vcc, v1, v3, vcc
	v_mov_b32_e32 v1, s9
	v_add_co_u32_e32 v2, vcc, s8, v2
	v_addc_co_u32_e32 v3, vcc, v1, v3, vcc
	global_load_dword v1, v[2:3], off
	global_load_dword v6, v[4:5], off
	s_waitcnt vmcnt(0)
	v_sub_f32_e32 v1, v1, v6
	v_and_b32_e32 v3, 0x7fffffff, v1
.LBB94_2:
	s_or_b64 exec, exec, s[0:1]
	s_movk_i32 s0, 0x80
	v_lshlrev_b32_e32 v1, 2, v0
	v_cmp_gt_u32_e32 vcc, s0, v0
	ds_write_b32 v1, v3
	s_waitcnt lgkmcnt(0)
	s_barrier
	s_and_saveexec_b64 s[0:1], vcc
	s_cbranch_execz .LBB94_4
; %bb.3:
	ds_read2st64_b32 v[2:3], v1 offset1:2
	s_waitcnt lgkmcnt(0)
	v_cmp_lt_f32_e32 vcc, v2, v3
	v_cndmask_b32_e32 v2, v2, v3, vcc
	ds_write_b32 v1, v2
.LBB94_4:
	s_or_b64 exec, exec, s[0:1]
	v_cmp_gt_u32_e32 vcc, 64, v0
	s_waitcnt lgkmcnt(0)
	s_barrier
	s_and_saveexec_b64 s[0:1], vcc
	s_cbranch_execz .LBB94_6
; %bb.5:
	ds_read2st64_b32 v[2:3], v1 offset1:1
	s_waitcnt lgkmcnt(0)
	v_cmp_lt_f32_e32 vcc, v2, v3
	v_cndmask_b32_e32 v2, v2, v3, vcc
	ds_write_b32 v1, v2
.LBB94_6:
	s_or_b64 exec, exec, s[0:1]
	v_cmp_gt_u32_e32 vcc, 32, v0
	s_waitcnt lgkmcnt(0)
	s_barrier
	s_and_saveexec_b64 s[0:1], vcc
	s_cbranch_execz .LBB94_8
; %bb.7:
	ds_read2_b32 v[2:3], v1 offset1:32
	s_waitcnt lgkmcnt(0)
	v_cmp_lt_f32_e32 vcc, v2, v3
	v_cndmask_b32_e32 v2, v2, v3, vcc
	ds_write_b32 v1, v2
.LBB94_8:
	s_or_b64 exec, exec, s[0:1]
	v_cmp_gt_u32_e32 vcc, 16, v0
	s_waitcnt lgkmcnt(0)
	s_barrier
	s_and_saveexec_b64 s[0:1], vcc
	s_cbranch_execz .LBB94_10
; %bb.9:
	ds_read2_b32 v[2:3], v1 offset1:16
	s_waitcnt lgkmcnt(0)
	v_cmp_lt_f32_e32 vcc, v2, v3
	v_cndmask_b32_e32 v2, v2, v3, vcc
	ds_write_b32 v1, v2
.LBB94_10:
	s_or_b64 exec, exec, s[0:1]
	v_cmp_gt_u32_e32 vcc, 8, v0
	s_waitcnt lgkmcnt(0)
	s_barrier
	s_and_saveexec_b64 s[0:1], vcc
	s_cbranch_execz .LBB94_12
; %bb.11:
	ds_read2_b32 v[2:3], v1 offset1:8
	s_waitcnt lgkmcnt(0)
	v_cmp_lt_f32_e32 vcc, v2, v3
	v_cndmask_b32_e32 v2, v2, v3, vcc
	ds_write_b32 v1, v2
.LBB94_12:
	s_or_b64 exec, exec, s[0:1]
	v_cmp_gt_u32_e32 vcc, 4, v0
	s_waitcnt lgkmcnt(0)
	s_barrier
	s_and_saveexec_b64 s[0:1], vcc
	s_cbranch_execz .LBB94_14
; %bb.13:
	ds_read2_b32 v[2:3], v1 offset1:4
	s_waitcnt lgkmcnt(0)
	v_cmp_lt_f32_e32 vcc, v2, v3
	v_cndmask_b32_e32 v2, v2, v3, vcc
	ds_write_b32 v1, v2
.LBB94_14:
	s_or_b64 exec, exec, s[0:1]
	v_cmp_gt_u32_e32 vcc, 2, v0
	s_waitcnt lgkmcnt(0)
	s_barrier
	s_and_saveexec_b64 s[0:1], vcc
	s_cbranch_execz .LBB94_16
; %bb.15:
	ds_read2_b32 v[2:3], v1 offset1:2
	s_waitcnt lgkmcnt(0)
	v_cmp_lt_f32_e32 vcc, v2, v3
	v_cndmask_b32_e32 v2, v2, v3, vcc
	ds_write_b32 v1, v2
.LBB94_16:
	s_or_b64 exec, exec, s[0:1]
	v_cmp_eq_u32_e32 vcc, 0, v0
	s_waitcnt lgkmcnt(0)
	s_barrier
	s_and_saveexec_b64 s[2:3], vcc
	s_cbranch_execz .LBB94_18
; %bb.17:
	v_mov_b32_e32 v2, 0
	ds_read_b64 v[0:1], v2
	s_waitcnt lgkmcnt(0)
	v_cmp_lt_f32_e64 s[0:1], v0, v1
	v_cndmask_b32_e64 v0, v0, v1, s[0:1]
	ds_write_b32 v2, v0
.LBB94_18:
	s_or_b64 exec, exec, s[2:3]
	s_waitcnt lgkmcnt(0)
	s_barrier
	s_and_saveexec_b64 s[0:1], vcc
	s_cbranch_execz .LBB94_30
; %bb.19:
	s_load_dwordx4 s[4:7], s[4:5], 0x18
	v_mov_b32_e32 v1, 0
	ds_read_b32 v0, v1
	s_mov_b64 s[2:3], 0
	s_waitcnt lgkmcnt(0)
	s_cmp_eq_u64 s[6:7], 0
	s_cbranch_scc1 .LBB94_25
; %bb.20:
	s_load_dword s6, s[6:7], 0x0
	global_load_dword v3, v1, s[4:5] glc
                                        ; implicit-def: $sgpr10_sgpr11
	s_waitcnt lgkmcnt(0)
	v_div_scale_f32 v2, s[0:1], s6, s6, v0
	v_rcp_f32_e32 v4, v2
	v_div_scale_f32 v5, vcc, v0, s6, v0
	s_brev_b32 s0, 1
	v_fma_f32 v6, -v2, v4, 1.0
	v_fmac_f32_e32 v4, v6, v4
	v_mul_f32_e32 v6, v5, v4
	v_fma_f32 v7, -v2, v6, v5
	v_fmac_f32_e32 v6, v7, v4
	v_fma_f32 v2, -v2, v6, v5
	v_div_fmas_f32 v2, v2, v4, v6
	v_div_fixup_f32 v2, v2, s6, v0
	v_cmp_eq_f32_e32 vcc, 0, v2
                                        ; implicit-def: $sgpr6_sgpr7
	s_waitcnt vmcnt(0)
	v_cmp_eq_u32_e64 s[8:9], s0, v3
	s_branch .LBB94_22
.LBB94_21:                              ;   in Loop: Header=BB94_22 Depth=1
	s_or_b64 exec, exec, s[12:13]
	s_and_b64 s[0:1], exec, s[6:7]
	s_or_b64 s[2:3], s[0:1], s[2:3]
	s_andn2_b64 s[0:1], s[8:9], exec
	s_and_b64 s[8:9], s[10:11], exec
	s_or_b64 s[8:9], s[0:1], s[8:9]
	s_andn2_b64 exec, exec, s[2:3]
	s_cbranch_execz .LBB94_24
.LBB94_22:                              ; =>This Inner Loop Header: Depth=1
	v_cmp_lt_f32_e64 s[0:1], v3, v2
	s_and_b64 s[12:13], vcc, s[8:9]
	s_or_b64 s[0:1], s[0:1], s[12:13]
	s_andn2_b64 s[10:11], s[10:11], exec
	s_or_b64 s[6:7], s[6:7], exec
	s_and_saveexec_b64 s[12:13], s[0:1]
	s_cbranch_execz .LBB94_21
; %bb.23:                               ;   in Loop: Header=BB94_22 Depth=1
	global_atomic_cmpswap v4, v1, v[2:3], s[4:5] glc
	s_andn2_b64 s[10:11], s[10:11], exec
	s_andn2_b64 s[6:7], s[6:7], exec
                                        ; implicit-def: $sgpr8_sgpr9
	s_waitcnt vmcnt(0)
	v_cmp_eq_u32_e64 s[0:1], v4, v3
	v_cndmask_b32_e64 v3, v4, v3, s[0:1]
	v_cmp_class_f32_e64 s[14:15], v3, 32
	s_and_b64 s[0:1], s[0:1], exec
	s_and_b64 s[14:15], s[14:15], exec
	s_or_b64 s[6:7], s[6:7], s[0:1]
	s_or_b64 s[10:11], s[10:11], s[14:15]
	v_mov_b32_e32 v3, v4
	s_branch .LBB94_21
.LBB94_24:
	s_or_b64 exec, exec, s[2:3]
	s_branch .LBB94_30
.LBB94_25:
	s_cbranch_execz .LBB94_30
; %bb.26:
	v_mov_b32_e32 v2, 0
	global_load_dword v1, v2, s[4:5] glc
	s_brev_b32 s0, 1
	v_cmp_eq_f32_e32 vcc, 0, v0
	s_mov_b64 s[2:3], 0
                                        ; implicit-def: $sgpr6_sgpr7
                                        ; implicit-def: $sgpr10_sgpr11
	s_waitcnt vmcnt(0)
	v_cmp_eq_u32_e64 s[8:9], s0, v1
	s_branch .LBB94_28
.LBB94_27:                              ;   in Loop: Header=BB94_28 Depth=1
	s_or_b64 exec, exec, s[12:13]
	s_and_b64 s[0:1], exec, s[6:7]
	s_or_b64 s[2:3], s[0:1], s[2:3]
	s_andn2_b64 s[0:1], s[8:9], exec
	s_and_b64 s[8:9], s[10:11], exec
	s_or_b64 s[8:9], s[0:1], s[8:9]
	s_andn2_b64 exec, exec, s[2:3]
	s_cbranch_execz .LBB94_30
.LBB94_28:                              ; =>This Inner Loop Header: Depth=1
	v_cmp_lt_f32_e64 s[0:1], v1, v0
	s_and_b64 s[12:13], vcc, s[8:9]
	s_or_b64 s[0:1], s[0:1], s[12:13]
	s_andn2_b64 s[10:11], s[10:11], exec
	s_or_b64 s[6:7], s[6:7], exec
	s_and_saveexec_b64 s[12:13], s[0:1]
	s_cbranch_execz .LBB94_27
; %bb.29:                               ;   in Loop: Header=BB94_28 Depth=1
	global_atomic_cmpswap v3, v2, v[0:1], s[4:5] glc
	s_andn2_b64 s[10:11], s[10:11], exec
	s_andn2_b64 s[6:7], s[6:7], exec
                                        ; implicit-def: $sgpr8_sgpr9
	s_waitcnt vmcnt(0)
	v_cmp_eq_u32_e64 s[0:1], v3, v1
	v_cndmask_b32_e64 v1, v3, v1, s[0:1]
	v_cmp_class_f32_e64 s[14:15], v1, 32
	s_and_b64 s[0:1], s[0:1], exec
	s_and_b64 s[14:15], s[14:15], exec
	s_or_b64 s[6:7], s[6:7], s[0:1]
	s_or_b64 s[10:11], s[10:11], s[14:15]
	v_mov_b32_e32 v1, v3
	s_branch .LBB94_27
.LBB94_30:
	s_endpgm
	.section	.rodata,"a",@progbits
	.p2align	6, 0x0
	.amdhsa_kernel _ZN9rocsparseL18kernel_nrminf_diffILj256EfEEvmPKT0_S3_PNS_15floating_traitsIS1_E6data_tEPKS6_
		.amdhsa_group_segment_fixed_size 1024
		.amdhsa_private_segment_fixed_size 0
		.amdhsa_kernarg_size 40
		.amdhsa_user_sgpr_count 6
		.amdhsa_user_sgpr_private_segment_buffer 1
		.amdhsa_user_sgpr_dispatch_ptr 0
		.amdhsa_user_sgpr_queue_ptr 0
		.amdhsa_user_sgpr_kernarg_segment_ptr 1
		.amdhsa_user_sgpr_dispatch_id 0
		.amdhsa_user_sgpr_flat_scratch_init 0
		.amdhsa_user_sgpr_kernarg_preload_length 0
		.amdhsa_user_sgpr_kernarg_preload_offset 0
		.amdhsa_user_sgpr_private_segment_size 0
		.amdhsa_uses_dynamic_stack 0
		.amdhsa_system_sgpr_private_segment_wavefront_offset 0
		.amdhsa_system_sgpr_workgroup_id_x 1
		.amdhsa_system_sgpr_workgroup_id_y 0
		.amdhsa_system_sgpr_workgroup_id_z 0
		.amdhsa_system_sgpr_workgroup_info 0
		.amdhsa_system_vgpr_workitem_id 0
		.amdhsa_next_free_vgpr 8
		.amdhsa_next_free_sgpr 16
		.amdhsa_accum_offset 8
		.amdhsa_reserve_vcc 1
		.amdhsa_reserve_flat_scratch 0
		.amdhsa_float_round_mode_32 0
		.amdhsa_float_round_mode_16_64 0
		.amdhsa_float_denorm_mode_32 3
		.amdhsa_float_denorm_mode_16_64 3
		.amdhsa_dx10_clamp 1
		.amdhsa_ieee_mode 1
		.amdhsa_fp16_overflow 0
		.amdhsa_tg_split 0
		.amdhsa_exception_fp_ieee_invalid_op 0
		.amdhsa_exception_fp_denorm_src 0
		.amdhsa_exception_fp_ieee_div_zero 0
		.amdhsa_exception_fp_ieee_overflow 0
		.amdhsa_exception_fp_ieee_underflow 0
		.amdhsa_exception_fp_ieee_inexact 0
		.amdhsa_exception_int_div_zero 0
	.end_amdhsa_kernel
	.section	.text._ZN9rocsparseL18kernel_nrminf_diffILj256EfEEvmPKT0_S3_PNS_15floating_traitsIS1_E6data_tEPKS6_,"axG",@progbits,_ZN9rocsparseL18kernel_nrminf_diffILj256EfEEvmPKT0_S3_PNS_15floating_traitsIS1_E6data_tEPKS6_,comdat
.Lfunc_end94:
	.size	_ZN9rocsparseL18kernel_nrminf_diffILj256EfEEvmPKT0_S3_PNS_15floating_traitsIS1_E6data_tEPKS6_, .Lfunc_end94-_ZN9rocsparseL18kernel_nrminf_diffILj256EfEEvmPKT0_S3_PNS_15floating_traitsIS1_E6data_tEPKS6_
                                        ; -- End function
	.section	.AMDGPU.csdata,"",@progbits
; Kernel info:
; codeLenInByte = 1048
; NumSgprs: 20
; NumVgprs: 8
; NumAgprs: 0
; TotalNumVgprs: 8
; ScratchSize: 0
; MemoryBound: 0
; FloatMode: 240
; IeeeMode: 1
; LDSByteSize: 1024 bytes/workgroup (compile time only)
; SGPRBlocks: 2
; VGPRBlocks: 0
; NumSGPRsForWavesPerEU: 20
; NumVGPRsForWavesPerEU: 8
; AccumOffset: 8
; Occupancy: 8
; WaveLimiterHint : 0
; COMPUTE_PGM_RSRC2:SCRATCH_EN: 0
; COMPUTE_PGM_RSRC2:USER_SGPR: 6
; COMPUTE_PGM_RSRC2:TRAP_HANDLER: 0
; COMPUTE_PGM_RSRC2:TGID_X_EN: 1
; COMPUTE_PGM_RSRC2:TGID_Y_EN: 0
; COMPUTE_PGM_RSRC2:TGID_Z_EN: 0
; COMPUTE_PGM_RSRC2:TIDIG_COMP_CNT: 0
; COMPUTE_PGM_RSRC3_GFX90A:ACCUM_OFFSET: 1
; COMPUTE_PGM_RSRC3_GFX90A:TG_SPLIT: 0
	.section	.text._ZN9rocsparseL13kernel_nrminfILj256EfEEvmPKT0_PNS_15floating_traitsIS1_E6data_tEPKS6_,"axG",@progbits,_ZN9rocsparseL13kernel_nrminfILj256EfEEvmPKT0_PNS_15floating_traitsIS1_E6data_tEPKS6_,comdat
	.globl	_ZN9rocsparseL13kernel_nrminfILj256EfEEvmPKT0_PNS_15floating_traitsIS1_E6data_tEPKS6_ ; -- Begin function _ZN9rocsparseL13kernel_nrminfILj256EfEEvmPKT0_PNS_15floating_traitsIS1_E6data_tEPKS6_
	.p2align	8
	.type	_ZN9rocsparseL13kernel_nrminfILj256EfEEvmPKT0_PNS_15floating_traitsIS1_E6data_tEPKS6_,@function
_ZN9rocsparseL13kernel_nrminfILj256EfEEvmPKT0_PNS_15floating_traitsIS1_E6data_tEPKS6_: ; @_ZN9rocsparseL13kernel_nrminfILj256EfEEvmPKT0_PNS_15floating_traitsIS1_E6data_tEPKS6_
; %bb.0:
	s_load_dwordx2 s[0:1], s[4:5], 0x0
	v_lshl_or_b32 v2, s6, 8, v0
	v_mov_b32_e32 v3, 0
	s_waitcnt lgkmcnt(0)
	v_cmp_gt_u64_e32 vcc, s[0:1], v[2:3]
	s_and_saveexec_b64 s[0:1], vcc
	s_cbranch_execz .LBB95_2
; %bb.1:
	s_load_dwordx2 s[2:3], s[4:5], 0x8
	v_lshlrev_b64 v[2:3], 2, v[2:3]
	s_waitcnt lgkmcnt(0)
	v_mov_b32_e32 v1, s3
	v_add_co_u32_e32 v2, vcc, s2, v2
	v_addc_co_u32_e32 v3, vcc, v1, v3, vcc
	global_load_dword v1, v[2:3], off
	s_waitcnt vmcnt(0)
	v_and_b32_e32 v3, 0x7fffffff, v1
.LBB95_2:
	s_or_b64 exec, exec, s[0:1]
	s_movk_i32 s0, 0x80
	v_lshlrev_b32_e32 v1, 2, v0
	v_cmp_gt_u32_e32 vcc, s0, v0
	ds_write_b32 v1, v3
	s_waitcnt lgkmcnt(0)
	s_barrier
	s_and_saveexec_b64 s[0:1], vcc
	s_cbranch_execz .LBB95_4
; %bb.3:
	ds_read2st64_b32 v[2:3], v1 offset1:2
	s_waitcnt lgkmcnt(0)
	v_cmp_lt_f32_e32 vcc, v2, v3
	v_cndmask_b32_e32 v2, v2, v3, vcc
	ds_write_b32 v1, v2
.LBB95_4:
	s_or_b64 exec, exec, s[0:1]
	v_cmp_gt_u32_e32 vcc, 64, v0
	s_waitcnt lgkmcnt(0)
	s_barrier
	s_and_saveexec_b64 s[0:1], vcc
	s_cbranch_execz .LBB95_6
; %bb.5:
	ds_read2st64_b32 v[2:3], v1 offset1:1
	s_waitcnt lgkmcnt(0)
	v_cmp_lt_f32_e32 vcc, v2, v3
	v_cndmask_b32_e32 v2, v2, v3, vcc
	ds_write_b32 v1, v2
.LBB95_6:
	s_or_b64 exec, exec, s[0:1]
	v_cmp_gt_u32_e32 vcc, 32, v0
	s_waitcnt lgkmcnt(0)
	s_barrier
	s_and_saveexec_b64 s[0:1], vcc
	s_cbranch_execz .LBB95_8
; %bb.7:
	ds_read2_b32 v[2:3], v1 offset1:32
	s_waitcnt lgkmcnt(0)
	v_cmp_lt_f32_e32 vcc, v2, v3
	v_cndmask_b32_e32 v2, v2, v3, vcc
	ds_write_b32 v1, v2
.LBB95_8:
	s_or_b64 exec, exec, s[0:1]
	v_cmp_gt_u32_e32 vcc, 16, v0
	s_waitcnt lgkmcnt(0)
	s_barrier
	s_and_saveexec_b64 s[0:1], vcc
	s_cbranch_execz .LBB95_10
; %bb.9:
	ds_read2_b32 v[2:3], v1 offset1:16
	s_waitcnt lgkmcnt(0)
	v_cmp_lt_f32_e32 vcc, v2, v3
	v_cndmask_b32_e32 v2, v2, v3, vcc
	ds_write_b32 v1, v2
.LBB95_10:
	;; [unrolled: 13-line block ×5, first 2 shown]
	s_or_b64 exec, exec, s[0:1]
	v_cmp_eq_u32_e32 vcc, 0, v0
	s_waitcnt lgkmcnt(0)
	s_barrier
	s_and_saveexec_b64 s[2:3], vcc
	s_cbranch_execz .LBB95_18
; %bb.17:
	v_mov_b32_e32 v2, 0
	ds_read_b64 v[0:1], v2
	s_waitcnt lgkmcnt(0)
	v_cmp_lt_f32_e64 s[0:1], v0, v1
	v_cndmask_b32_e64 v0, v0, v1, s[0:1]
	ds_write_b32 v2, v0
.LBB95_18:
	s_or_b64 exec, exec, s[2:3]
	s_waitcnt lgkmcnt(0)
	s_barrier
	s_and_saveexec_b64 s[0:1], vcc
	s_cbranch_execz .LBB95_30
; %bb.19:
	s_load_dwordx4 s[4:7], s[4:5], 0x10
	v_mov_b32_e32 v1, 0
	ds_read_b32 v0, v1
	s_mov_b64 s[2:3], 0
	s_waitcnt lgkmcnt(0)
	s_cmp_eq_u64 s[6:7], 0
	s_cbranch_scc1 .LBB95_25
; %bb.20:
	s_load_dword s6, s[6:7], 0x0
	global_load_dword v3, v1, s[4:5] glc
                                        ; implicit-def: $sgpr10_sgpr11
	s_waitcnt lgkmcnt(0)
	v_div_scale_f32 v2, s[0:1], s6, s6, v0
	v_rcp_f32_e32 v4, v2
	v_div_scale_f32 v5, vcc, v0, s6, v0
	s_brev_b32 s0, 1
	v_fma_f32 v6, -v2, v4, 1.0
	v_fmac_f32_e32 v4, v6, v4
	v_mul_f32_e32 v6, v5, v4
	v_fma_f32 v7, -v2, v6, v5
	v_fmac_f32_e32 v6, v7, v4
	v_fma_f32 v2, -v2, v6, v5
	v_div_fmas_f32 v2, v2, v4, v6
	v_div_fixup_f32 v2, v2, s6, v0
	v_cmp_eq_f32_e32 vcc, 0, v2
                                        ; implicit-def: $sgpr6_sgpr7
	s_waitcnt vmcnt(0)
	v_cmp_eq_u32_e64 s[8:9], s0, v3
	s_branch .LBB95_22
.LBB95_21:                              ;   in Loop: Header=BB95_22 Depth=1
	s_or_b64 exec, exec, s[12:13]
	s_and_b64 s[0:1], exec, s[6:7]
	s_or_b64 s[2:3], s[0:1], s[2:3]
	s_andn2_b64 s[0:1], s[8:9], exec
	s_and_b64 s[8:9], s[10:11], exec
	s_or_b64 s[8:9], s[0:1], s[8:9]
	s_andn2_b64 exec, exec, s[2:3]
	s_cbranch_execz .LBB95_24
.LBB95_22:                              ; =>This Inner Loop Header: Depth=1
	v_cmp_lt_f32_e64 s[0:1], v3, v2
	s_and_b64 s[12:13], vcc, s[8:9]
	s_or_b64 s[0:1], s[0:1], s[12:13]
	s_andn2_b64 s[10:11], s[10:11], exec
	s_or_b64 s[6:7], s[6:7], exec
	s_and_saveexec_b64 s[12:13], s[0:1]
	s_cbranch_execz .LBB95_21
; %bb.23:                               ;   in Loop: Header=BB95_22 Depth=1
	global_atomic_cmpswap v4, v1, v[2:3], s[4:5] glc
	s_andn2_b64 s[10:11], s[10:11], exec
	s_andn2_b64 s[6:7], s[6:7], exec
                                        ; implicit-def: $sgpr8_sgpr9
	s_waitcnt vmcnt(0)
	v_cmp_eq_u32_e64 s[0:1], v4, v3
	v_cndmask_b32_e64 v3, v4, v3, s[0:1]
	v_cmp_class_f32_e64 s[14:15], v3, 32
	s_and_b64 s[0:1], s[0:1], exec
	s_and_b64 s[14:15], s[14:15], exec
	s_or_b64 s[6:7], s[6:7], s[0:1]
	s_or_b64 s[10:11], s[10:11], s[14:15]
	v_mov_b32_e32 v3, v4
	s_branch .LBB95_21
.LBB95_24:
	s_or_b64 exec, exec, s[2:3]
	s_branch .LBB95_30
.LBB95_25:
	s_cbranch_execz .LBB95_30
; %bb.26:
	v_mov_b32_e32 v2, 0
	global_load_dword v1, v2, s[4:5] glc
	s_brev_b32 s0, 1
	v_cmp_eq_f32_e32 vcc, 0, v0
	s_mov_b64 s[2:3], 0
                                        ; implicit-def: $sgpr6_sgpr7
                                        ; implicit-def: $sgpr10_sgpr11
	s_waitcnt vmcnt(0)
	v_cmp_eq_u32_e64 s[8:9], s0, v1
	s_branch .LBB95_28
.LBB95_27:                              ;   in Loop: Header=BB95_28 Depth=1
	s_or_b64 exec, exec, s[12:13]
	s_and_b64 s[0:1], exec, s[6:7]
	s_or_b64 s[2:3], s[0:1], s[2:3]
	s_andn2_b64 s[0:1], s[8:9], exec
	s_and_b64 s[8:9], s[10:11], exec
	s_or_b64 s[8:9], s[0:1], s[8:9]
	s_andn2_b64 exec, exec, s[2:3]
	s_cbranch_execz .LBB95_30
.LBB95_28:                              ; =>This Inner Loop Header: Depth=1
	v_cmp_lt_f32_e64 s[0:1], v1, v0
	s_and_b64 s[12:13], vcc, s[8:9]
	s_or_b64 s[0:1], s[0:1], s[12:13]
	s_andn2_b64 s[10:11], s[10:11], exec
	s_or_b64 s[6:7], s[6:7], exec
	s_and_saveexec_b64 s[12:13], s[0:1]
	s_cbranch_execz .LBB95_27
; %bb.29:                               ;   in Loop: Header=BB95_28 Depth=1
	global_atomic_cmpswap v3, v2, v[0:1], s[4:5] glc
	s_andn2_b64 s[10:11], s[10:11], exec
	s_andn2_b64 s[6:7], s[6:7], exec
                                        ; implicit-def: $sgpr8_sgpr9
	s_waitcnt vmcnt(0)
	v_cmp_eq_u32_e64 s[0:1], v3, v1
	v_cndmask_b32_e64 v1, v3, v1, s[0:1]
	v_cmp_class_f32_e64 s[14:15], v1, 32
	s_and_b64 s[0:1], s[0:1], exec
	s_and_b64 s[14:15], s[14:15], exec
	s_or_b64 s[6:7], s[6:7], s[0:1]
	s_or_b64 s[10:11], s[10:11], s[14:15]
	v_mov_b32_e32 v1, v3
	s_branch .LBB95_27
.LBB95_30:
	s_endpgm
	.section	.rodata,"a",@progbits
	.p2align	6, 0x0
	.amdhsa_kernel _ZN9rocsparseL13kernel_nrminfILj256EfEEvmPKT0_PNS_15floating_traitsIS1_E6data_tEPKS6_
		.amdhsa_group_segment_fixed_size 1024
		.amdhsa_private_segment_fixed_size 0
		.amdhsa_kernarg_size 32
		.amdhsa_user_sgpr_count 6
		.amdhsa_user_sgpr_private_segment_buffer 1
		.amdhsa_user_sgpr_dispatch_ptr 0
		.amdhsa_user_sgpr_queue_ptr 0
		.amdhsa_user_sgpr_kernarg_segment_ptr 1
		.amdhsa_user_sgpr_dispatch_id 0
		.amdhsa_user_sgpr_flat_scratch_init 0
		.amdhsa_user_sgpr_kernarg_preload_length 0
		.amdhsa_user_sgpr_kernarg_preload_offset 0
		.amdhsa_user_sgpr_private_segment_size 0
		.amdhsa_uses_dynamic_stack 0
		.amdhsa_system_sgpr_private_segment_wavefront_offset 0
		.amdhsa_system_sgpr_workgroup_id_x 1
		.amdhsa_system_sgpr_workgroup_id_y 0
		.amdhsa_system_sgpr_workgroup_id_z 0
		.amdhsa_system_sgpr_workgroup_info 0
		.amdhsa_system_vgpr_workitem_id 0
		.amdhsa_next_free_vgpr 8
		.amdhsa_next_free_sgpr 16
		.amdhsa_accum_offset 8
		.amdhsa_reserve_vcc 1
		.amdhsa_reserve_flat_scratch 0
		.amdhsa_float_round_mode_32 0
		.amdhsa_float_round_mode_16_64 0
		.amdhsa_float_denorm_mode_32 3
		.amdhsa_float_denorm_mode_16_64 3
		.amdhsa_dx10_clamp 1
		.amdhsa_ieee_mode 1
		.amdhsa_fp16_overflow 0
		.amdhsa_tg_split 0
		.amdhsa_exception_fp_ieee_invalid_op 0
		.amdhsa_exception_fp_denorm_src 0
		.amdhsa_exception_fp_ieee_div_zero 0
		.amdhsa_exception_fp_ieee_overflow 0
		.amdhsa_exception_fp_ieee_underflow 0
		.amdhsa_exception_fp_ieee_inexact 0
		.amdhsa_exception_int_div_zero 0
	.end_amdhsa_kernel
	.section	.text._ZN9rocsparseL13kernel_nrminfILj256EfEEvmPKT0_PNS_15floating_traitsIS1_E6data_tEPKS6_,"axG",@progbits,_ZN9rocsparseL13kernel_nrminfILj256EfEEvmPKT0_PNS_15floating_traitsIS1_E6data_tEPKS6_,comdat
.Lfunc_end95:
	.size	_ZN9rocsparseL13kernel_nrminfILj256EfEEvmPKT0_PNS_15floating_traitsIS1_E6data_tEPKS6_, .Lfunc_end95-_ZN9rocsparseL13kernel_nrminfILj256EfEEvmPKT0_PNS_15floating_traitsIS1_E6data_tEPKS6_
                                        ; -- End function
	.section	.AMDGPU.csdata,"",@progbits
; Kernel info:
; codeLenInByte = 1024
; NumSgprs: 20
; NumVgprs: 8
; NumAgprs: 0
; TotalNumVgprs: 8
; ScratchSize: 0
; MemoryBound: 0
; FloatMode: 240
; IeeeMode: 1
; LDSByteSize: 1024 bytes/workgroup (compile time only)
; SGPRBlocks: 2
; VGPRBlocks: 0
; NumSGPRsForWavesPerEU: 20
; NumVGPRsForWavesPerEU: 8
; AccumOffset: 8
; Occupancy: 8
; WaveLimiterHint : 0
; COMPUTE_PGM_RSRC2:SCRATCH_EN: 0
; COMPUTE_PGM_RSRC2:USER_SGPR: 6
; COMPUTE_PGM_RSRC2:TRAP_HANDLER: 0
; COMPUTE_PGM_RSRC2:TGID_X_EN: 1
; COMPUTE_PGM_RSRC2:TGID_Y_EN: 0
; COMPUTE_PGM_RSRC2:TGID_Z_EN: 0
; COMPUTE_PGM_RSRC2:TIDIG_COMP_CNT: 0
; COMPUTE_PGM_RSRC3_GFX90A:ACCUM_OFFSET: 1
; COMPUTE_PGM_RSRC3_GFX90A:TG_SPLIT: 0
	.section	.text._ZN9rocsparseL18kernel_nrminf_diffILj256EdEEvmPKT0_S3_PNS_15floating_traitsIS1_E6data_tEPKS6_,"axG",@progbits,_ZN9rocsparseL18kernel_nrminf_diffILj256EdEEvmPKT0_S3_PNS_15floating_traitsIS1_E6data_tEPKS6_,comdat
	.globl	_ZN9rocsparseL18kernel_nrminf_diffILj256EdEEvmPKT0_S3_PNS_15floating_traitsIS1_E6data_tEPKS6_ ; -- Begin function _ZN9rocsparseL18kernel_nrminf_diffILj256EdEEvmPKT0_S3_PNS_15floating_traitsIS1_E6data_tEPKS6_
	.p2align	8
	.type	_ZN9rocsparseL18kernel_nrminf_diffILj256EdEEvmPKT0_S3_PNS_15floating_traitsIS1_E6data_tEPKS6_,@function
_ZN9rocsparseL18kernel_nrminf_diffILj256EdEEvmPKT0_S3_PNS_15floating_traitsIS1_E6data_tEPKS6_: ; @_ZN9rocsparseL18kernel_nrminf_diffILj256EdEEvmPKT0_S3_PNS_15floating_traitsIS1_E6data_tEPKS6_
; %bb.0:
	s_load_dwordx2 s[0:1], s[4:5], 0x0
	v_mov_b32_e32 v3, 0
	v_lshl_or_b32 v2, s6, 8, v0
	v_pk_mov_b32 v[4:5], 0, 0
	s_waitcnt lgkmcnt(0)
	v_cmp_gt_u64_e32 vcc, s[0:1], v[2:3]
	s_and_saveexec_b64 s[0:1], vcc
	s_cbranch_execz .LBB96_2
; %bb.1:
	s_load_dwordx4 s[8:11], s[4:5], 0x8
	v_lshlrev_b64 v[2:3], 3, v[2:3]
	s_waitcnt lgkmcnt(0)
	v_mov_b32_e32 v1, s11
	v_add_co_u32_e32 v4, vcc, s10, v2
	v_addc_co_u32_e32 v5, vcc, v1, v3, vcc
	v_mov_b32_e32 v1, s9
	v_add_co_u32_e32 v2, vcc, s8, v2
	v_addc_co_u32_e32 v3, vcc, v1, v3, vcc
	global_load_dwordx2 v[6:7], v[2:3], off
	global_load_dwordx2 v[8:9], v[4:5], off
	s_waitcnt vmcnt(0)
	v_add_f64 v[4:5], v[6:7], -v[8:9]
	v_and_b32_e32 v5, 0x7fffffff, v5
.LBB96_2:
	s_or_b64 exec, exec, s[0:1]
	s_movk_i32 s0, 0x80
	v_lshlrev_b32_e32 v1, 3, v0
	v_cmp_gt_u32_e32 vcc, s0, v0
	ds_write_b64 v1, v[4:5]
	s_waitcnt lgkmcnt(0)
	s_barrier
	s_and_saveexec_b64 s[0:1], vcc
	s_cbranch_execz .LBB96_4
; %bb.3:
	ds_read2st64_b64 v[2:5], v1 offset1:2
	s_waitcnt lgkmcnt(0)
	v_cmp_lt_f64_e32 vcc, v[2:3], v[4:5]
	v_cndmask_b32_e32 v3, v3, v5, vcc
	v_cndmask_b32_e32 v2, v2, v4, vcc
	ds_write_b64 v1, v[2:3]
.LBB96_4:
	s_or_b64 exec, exec, s[0:1]
	v_cmp_gt_u32_e32 vcc, 64, v0
	s_waitcnt lgkmcnt(0)
	s_barrier
	s_and_saveexec_b64 s[0:1], vcc
	s_cbranch_execz .LBB96_6
; %bb.5:
	ds_read2st64_b64 v[2:5], v1 offset1:1
	s_waitcnt lgkmcnt(0)
	v_cmp_lt_f64_e32 vcc, v[2:3], v[4:5]
	v_cndmask_b32_e32 v3, v3, v5, vcc
	v_cndmask_b32_e32 v2, v2, v4, vcc
	ds_write_b64 v1, v[2:3]
.LBB96_6:
	s_or_b64 exec, exec, s[0:1]
	v_cmp_gt_u32_e32 vcc, 32, v0
	s_waitcnt lgkmcnt(0)
	s_barrier
	s_and_saveexec_b64 s[0:1], vcc
	s_cbranch_execz .LBB96_8
; %bb.7:
	ds_read2_b64 v[2:5], v1 offset1:32
	s_waitcnt lgkmcnt(0)
	v_cmp_lt_f64_e32 vcc, v[2:3], v[4:5]
	v_cndmask_b32_e32 v3, v3, v5, vcc
	v_cndmask_b32_e32 v2, v2, v4, vcc
	ds_write_b64 v1, v[2:3]
.LBB96_8:
	s_or_b64 exec, exec, s[0:1]
	v_cmp_gt_u32_e32 vcc, 16, v0
	s_waitcnt lgkmcnt(0)
	s_barrier
	s_and_saveexec_b64 s[0:1], vcc
	s_cbranch_execz .LBB96_10
; %bb.9:
	ds_read2_b64 v[2:5], v1 offset1:16
	s_waitcnt lgkmcnt(0)
	v_cmp_lt_f64_e32 vcc, v[2:3], v[4:5]
	v_cndmask_b32_e32 v3, v3, v5, vcc
	v_cndmask_b32_e32 v2, v2, v4, vcc
	ds_write_b64 v1, v[2:3]
.LBB96_10:
	;; [unrolled: 14-line block ×5, first 2 shown]
	s_or_b64 exec, exec, s[0:1]
	v_cmp_eq_u32_e32 vcc, 0, v0
	s_waitcnt lgkmcnt(0)
	s_barrier
	s_and_saveexec_b64 s[2:3], vcc
	s_cbranch_execz .LBB96_18
; %bb.17:
	v_mov_b32_e32 v4, 0
	ds_read_b128 v[0:3], v4
	s_waitcnt lgkmcnt(0)
	v_cmp_lt_f64_e64 s[0:1], v[0:1], v[2:3]
	v_cndmask_b32_e64 v1, v1, v3, s[0:1]
	v_cndmask_b32_e64 v0, v0, v2, s[0:1]
	ds_write_b64 v4, v[0:1]
.LBB96_18:
	s_or_b64 exec, exec, s[2:3]
	s_waitcnt lgkmcnt(0)
	s_barrier
	s_and_saveexec_b64 s[0:1], vcc
	s_cbranch_execz .LBB96_30
; %bb.19:
	s_load_dwordx4 s[4:7], s[4:5], 0x18
	v_mov_b32_e32 v6, 0
	ds_read_b64 v[0:1], v6
	s_mov_b64 s[2:3], 0
	s_waitcnt lgkmcnt(0)
	s_cmp_eq_u64 s[6:7], 0
	s_cbranch_scc1 .LBB96_25
; %bb.20:
	s_load_dwordx2 s[0:1], s[6:7], 0x0
	global_load_dwordx2 v[4:5], v6, s[4:5] glc
                                        ; implicit-def: $sgpr8_sgpr9
	s_waitcnt lgkmcnt(0)
	v_div_scale_f64 v[2:3], s[6:7], s[0:1], s[0:1], v[0:1]
	v_rcp_f64_e32 v[8:9], v[2:3]
	v_div_scale_f64 v[10:11], vcc, v[0:1], s[0:1], v[0:1]
	s_mov_b32 s6, 0
	v_fma_f64 v[12:13], -v[2:3], v[8:9], 1.0
	v_fmac_f64_e32 v[8:9], v[8:9], v[12:13]
	v_fma_f64 v[12:13], -v[2:3], v[8:9], 1.0
	v_fmac_f64_e32 v[8:9], v[8:9], v[12:13]
	v_mul_f64 v[12:13], v[10:11], v[8:9]
	v_fma_f64 v[2:3], -v[2:3], v[12:13], v[10:11]
	v_div_fmas_f64 v[2:3], v[2:3], v[8:9], v[12:13]
	s_brev_b32 s7, 1
	v_div_fixup_f64 v[2:3], v[2:3], s[0:1], v[0:1]
	v_cmp_eq_f64_e32 vcc, 0, v[2:3]
	s_waitcnt vmcnt(0)
	v_cmp_eq_u64_e64 s[10:11], s[6:7], v[4:5]
                                        ; implicit-def: $sgpr6_sgpr7
	s_branch .LBB96_22
.LBB96_21:                              ;   in Loop: Header=BB96_22 Depth=1
	s_or_b64 exec, exec, s[12:13]
	s_and_b64 s[0:1], exec, s[6:7]
	s_or_b64 s[2:3], s[0:1], s[2:3]
	s_andn2_b64 s[0:1], s[10:11], exec
	s_and_b64 s[10:11], s[8:9], exec
	s_or_b64 s[10:11], s[0:1], s[10:11]
	s_andn2_b64 exec, exec, s[2:3]
	s_cbranch_execz .LBB96_24
.LBB96_22:                              ; =>This Inner Loop Header: Depth=1
	v_cmp_lt_f64_e64 s[0:1], v[4:5], v[2:3]
	s_and_b64 s[12:13], vcc, s[10:11]
	s_or_b64 s[0:1], s[0:1], s[12:13]
	s_andn2_b64 s[8:9], s[8:9], exec
	s_or_b64 s[6:7], s[6:7], exec
	s_and_saveexec_b64 s[12:13], s[0:1]
	s_cbranch_execz .LBB96_21
; %bb.23:                               ;   in Loop: Header=BB96_22 Depth=1
	global_atomic_cmpswap_x2 v[8:9], v6, v[2:5], s[4:5] glc
	s_andn2_b64 s[6:7], s[6:7], exec
	s_andn2_b64 s[8:9], s[8:9], exec
                                        ; implicit-def: $sgpr10_sgpr11
	s_waitcnt vmcnt(0)
	v_cmp_eq_u64_e64 s[0:1], v[8:9], v[4:5]
	v_cndmask_b32_e64 v5, v9, v5, s[0:1]
	v_cndmask_b32_e64 v4, v8, v4, s[0:1]
	s_and_b64 s[0:1], s[0:1], exec
	v_cmp_class_f64_e64 s[14:15], v[4:5], 32
	s_or_b64 s[6:7], s[6:7], s[0:1]
	s_and_b64 s[0:1], s[14:15], exec
	s_or_b64 s[8:9], s[8:9], s[0:1]
	v_pk_mov_b32 v[4:5], v[8:9], v[8:9] op_sel:[0,1]
	s_branch .LBB96_21
.LBB96_24:
	s_or_b64 exec, exec, s[2:3]
	s_branch .LBB96_30
.LBB96_25:
	s_cbranch_execz .LBB96_30
; %bb.26:
	v_mov_b32_e32 v4, 0
	global_load_dwordx2 v[2:3], v4, s[4:5] glc
	s_mov_b32 s0, 0
	s_brev_b32 s1, 1
	s_mov_b64 s[2:3], 0
	v_cmp_eq_f64_e32 vcc, 0, v[0:1]
                                        ; implicit-def: $sgpr6_sgpr7
                                        ; implicit-def: $sgpr8_sgpr9
	s_waitcnt vmcnt(0)
	v_cmp_eq_u64_e64 s[10:11], s[0:1], v[2:3]
	s_branch .LBB96_28
.LBB96_27:                              ;   in Loop: Header=BB96_28 Depth=1
	s_or_b64 exec, exec, s[12:13]
	s_and_b64 s[0:1], exec, s[6:7]
	s_or_b64 s[2:3], s[0:1], s[2:3]
	s_andn2_b64 s[0:1], s[10:11], exec
	s_and_b64 s[10:11], s[8:9], exec
	s_or_b64 s[10:11], s[0:1], s[10:11]
	s_andn2_b64 exec, exec, s[2:3]
	s_cbranch_execz .LBB96_30
.LBB96_28:                              ; =>This Inner Loop Header: Depth=1
	v_cmp_lt_f64_e64 s[0:1], v[2:3], v[0:1]
	s_and_b64 s[12:13], vcc, s[10:11]
	s_or_b64 s[0:1], s[0:1], s[12:13]
	s_andn2_b64 s[8:9], s[8:9], exec
	s_or_b64 s[6:7], s[6:7], exec
	s_and_saveexec_b64 s[12:13], s[0:1]
	s_cbranch_execz .LBB96_27
; %bb.29:                               ;   in Loop: Header=BB96_28 Depth=1
	global_atomic_cmpswap_x2 v[6:7], v4, v[0:3], s[4:5] glc
	s_andn2_b64 s[6:7], s[6:7], exec
	s_andn2_b64 s[8:9], s[8:9], exec
                                        ; implicit-def: $sgpr10_sgpr11
	s_waitcnt vmcnt(0)
	v_cmp_eq_u64_e64 s[0:1], v[6:7], v[2:3]
	v_cndmask_b32_e64 v3, v7, v3, s[0:1]
	v_cndmask_b32_e64 v2, v6, v2, s[0:1]
	s_and_b64 s[0:1], s[0:1], exec
	v_cmp_class_f64_e64 s[14:15], v[2:3], 32
	s_or_b64 s[6:7], s[6:7], s[0:1]
	s_and_b64 s[0:1], s[14:15], exec
	s_or_b64 s[8:9], s[8:9], s[0:1]
	v_pk_mov_b32 v[2:3], v[6:7], v[6:7] op_sel:[0,1]
	s_branch .LBB96_27
.LBB96_30:
	s_endpgm
	.section	.rodata,"a",@progbits
	.p2align	6, 0x0
	.amdhsa_kernel _ZN9rocsparseL18kernel_nrminf_diffILj256EdEEvmPKT0_S3_PNS_15floating_traitsIS1_E6data_tEPKS6_
		.amdhsa_group_segment_fixed_size 2048
		.amdhsa_private_segment_fixed_size 0
		.amdhsa_kernarg_size 40
		.amdhsa_user_sgpr_count 6
		.amdhsa_user_sgpr_private_segment_buffer 1
		.amdhsa_user_sgpr_dispatch_ptr 0
		.amdhsa_user_sgpr_queue_ptr 0
		.amdhsa_user_sgpr_kernarg_segment_ptr 1
		.amdhsa_user_sgpr_dispatch_id 0
		.amdhsa_user_sgpr_flat_scratch_init 0
		.amdhsa_user_sgpr_kernarg_preload_length 0
		.amdhsa_user_sgpr_kernarg_preload_offset 0
		.amdhsa_user_sgpr_private_segment_size 0
		.amdhsa_uses_dynamic_stack 0
		.amdhsa_system_sgpr_private_segment_wavefront_offset 0
		.amdhsa_system_sgpr_workgroup_id_x 1
		.amdhsa_system_sgpr_workgroup_id_y 0
		.amdhsa_system_sgpr_workgroup_id_z 0
		.amdhsa_system_sgpr_workgroup_info 0
		.amdhsa_system_vgpr_workitem_id 0
		.amdhsa_next_free_vgpr 14
		.amdhsa_next_free_sgpr 16
		.amdhsa_accum_offset 16
		.amdhsa_reserve_vcc 1
		.amdhsa_reserve_flat_scratch 0
		.amdhsa_float_round_mode_32 0
		.amdhsa_float_round_mode_16_64 0
		.amdhsa_float_denorm_mode_32 3
		.amdhsa_float_denorm_mode_16_64 3
		.amdhsa_dx10_clamp 1
		.amdhsa_ieee_mode 1
		.amdhsa_fp16_overflow 0
		.amdhsa_tg_split 0
		.amdhsa_exception_fp_ieee_invalid_op 0
		.amdhsa_exception_fp_denorm_src 0
		.amdhsa_exception_fp_ieee_div_zero 0
		.amdhsa_exception_fp_ieee_overflow 0
		.amdhsa_exception_fp_ieee_underflow 0
		.amdhsa_exception_fp_ieee_inexact 0
		.amdhsa_exception_int_div_zero 0
	.end_amdhsa_kernel
	.section	.text._ZN9rocsparseL18kernel_nrminf_diffILj256EdEEvmPKT0_S3_PNS_15floating_traitsIS1_E6data_tEPKS6_,"axG",@progbits,_ZN9rocsparseL18kernel_nrminf_diffILj256EdEEvmPKT0_S3_PNS_15floating_traitsIS1_E6data_tEPKS6_,comdat
.Lfunc_end96:
	.size	_ZN9rocsparseL18kernel_nrminf_diffILj256EdEEvmPKT0_S3_PNS_15floating_traitsIS1_E6data_tEPKS6_, .Lfunc_end96-_ZN9rocsparseL18kernel_nrminf_diffILj256EdEEvmPKT0_S3_PNS_15floating_traitsIS1_E6data_tEPKS6_
                                        ; -- End function
	.section	.AMDGPU.csdata,"",@progbits
; Kernel info:
; codeLenInByte = 1132
; NumSgprs: 20
; NumVgprs: 14
; NumAgprs: 0
; TotalNumVgprs: 14
; ScratchSize: 0
; MemoryBound: 1
; FloatMode: 240
; IeeeMode: 1
; LDSByteSize: 2048 bytes/workgroup (compile time only)
; SGPRBlocks: 2
; VGPRBlocks: 1
; NumSGPRsForWavesPerEU: 20
; NumVGPRsForWavesPerEU: 14
; AccumOffset: 16
; Occupancy: 8
; WaveLimiterHint : 0
; COMPUTE_PGM_RSRC2:SCRATCH_EN: 0
; COMPUTE_PGM_RSRC2:USER_SGPR: 6
; COMPUTE_PGM_RSRC2:TRAP_HANDLER: 0
; COMPUTE_PGM_RSRC2:TGID_X_EN: 1
; COMPUTE_PGM_RSRC2:TGID_Y_EN: 0
; COMPUTE_PGM_RSRC2:TGID_Z_EN: 0
; COMPUTE_PGM_RSRC2:TIDIG_COMP_CNT: 0
; COMPUTE_PGM_RSRC3_GFX90A:ACCUM_OFFSET: 3
; COMPUTE_PGM_RSRC3_GFX90A:TG_SPLIT: 0
	.section	.text._ZN9rocsparseL13kernel_nrminfILj256EdEEvmPKT0_PNS_15floating_traitsIS1_E6data_tEPKS6_,"axG",@progbits,_ZN9rocsparseL13kernel_nrminfILj256EdEEvmPKT0_PNS_15floating_traitsIS1_E6data_tEPKS6_,comdat
	.globl	_ZN9rocsparseL13kernel_nrminfILj256EdEEvmPKT0_PNS_15floating_traitsIS1_E6data_tEPKS6_ ; -- Begin function _ZN9rocsparseL13kernel_nrminfILj256EdEEvmPKT0_PNS_15floating_traitsIS1_E6data_tEPKS6_
	.p2align	8
	.type	_ZN9rocsparseL13kernel_nrminfILj256EdEEvmPKT0_PNS_15floating_traitsIS1_E6data_tEPKS6_,@function
_ZN9rocsparseL13kernel_nrminfILj256EdEEvmPKT0_PNS_15floating_traitsIS1_E6data_tEPKS6_: ; @_ZN9rocsparseL13kernel_nrminfILj256EdEEvmPKT0_PNS_15floating_traitsIS1_E6data_tEPKS6_
; %bb.0:
	s_load_dwordx2 s[0:1], s[4:5], 0x0
	v_mov_b32_e32 v5, 0
	v_lshl_or_b32 v4, s6, 8, v0
	v_pk_mov_b32 v[2:3], 0, 0
	s_waitcnt lgkmcnt(0)
	v_cmp_gt_u64_e32 vcc, s[0:1], v[4:5]
	s_and_saveexec_b64 s[0:1], vcc
	s_cbranch_execz .LBB97_2
; %bb.1:
	s_load_dwordx2 s[2:3], s[4:5], 0x8
	v_lshlrev_b64 v[2:3], 3, v[4:5]
	s_waitcnt lgkmcnt(0)
	v_mov_b32_e32 v1, s3
	v_add_co_u32_e32 v2, vcc, s2, v2
	v_addc_co_u32_e32 v3, vcc, v1, v3, vcc
	global_load_dwordx2 v[2:3], v[2:3], off
	s_waitcnt vmcnt(0)
	v_and_b32_e32 v3, 0x7fffffff, v3
.LBB97_2:
	s_or_b64 exec, exec, s[0:1]
	s_movk_i32 s0, 0x80
	v_lshlrev_b32_e32 v1, 3, v0
	v_cmp_gt_u32_e32 vcc, s0, v0
	ds_write_b64 v1, v[2:3]
	s_waitcnt lgkmcnt(0)
	s_barrier
	s_and_saveexec_b64 s[0:1], vcc
	s_cbranch_execz .LBB97_4
; %bb.3:
	ds_read2st64_b64 v[2:5], v1 offset1:2
	s_waitcnt lgkmcnt(0)
	v_cmp_lt_f64_e32 vcc, v[2:3], v[4:5]
	v_cndmask_b32_e32 v3, v3, v5, vcc
	v_cndmask_b32_e32 v2, v2, v4, vcc
	ds_write_b64 v1, v[2:3]
.LBB97_4:
	s_or_b64 exec, exec, s[0:1]
	v_cmp_gt_u32_e32 vcc, 64, v0
	s_waitcnt lgkmcnt(0)
	s_barrier
	s_and_saveexec_b64 s[0:1], vcc
	s_cbranch_execz .LBB97_6
; %bb.5:
	ds_read2st64_b64 v[2:5], v1 offset1:1
	s_waitcnt lgkmcnt(0)
	v_cmp_lt_f64_e32 vcc, v[2:3], v[4:5]
	v_cndmask_b32_e32 v3, v3, v5, vcc
	v_cndmask_b32_e32 v2, v2, v4, vcc
	ds_write_b64 v1, v[2:3]
.LBB97_6:
	s_or_b64 exec, exec, s[0:1]
	v_cmp_gt_u32_e32 vcc, 32, v0
	s_waitcnt lgkmcnt(0)
	s_barrier
	s_and_saveexec_b64 s[0:1], vcc
	s_cbranch_execz .LBB97_8
; %bb.7:
	ds_read2_b64 v[2:5], v1 offset1:32
	s_waitcnt lgkmcnt(0)
	v_cmp_lt_f64_e32 vcc, v[2:3], v[4:5]
	v_cndmask_b32_e32 v3, v3, v5, vcc
	v_cndmask_b32_e32 v2, v2, v4, vcc
	ds_write_b64 v1, v[2:3]
.LBB97_8:
	s_or_b64 exec, exec, s[0:1]
	v_cmp_gt_u32_e32 vcc, 16, v0
	s_waitcnt lgkmcnt(0)
	s_barrier
	s_and_saveexec_b64 s[0:1], vcc
	s_cbranch_execz .LBB97_10
; %bb.9:
	ds_read2_b64 v[2:5], v1 offset1:16
	s_waitcnt lgkmcnt(0)
	v_cmp_lt_f64_e32 vcc, v[2:3], v[4:5]
	v_cndmask_b32_e32 v3, v3, v5, vcc
	v_cndmask_b32_e32 v2, v2, v4, vcc
	ds_write_b64 v1, v[2:3]
.LBB97_10:
	;; [unrolled: 14-line block ×5, first 2 shown]
	s_or_b64 exec, exec, s[0:1]
	v_cmp_eq_u32_e32 vcc, 0, v0
	s_waitcnt lgkmcnt(0)
	s_barrier
	s_and_saveexec_b64 s[2:3], vcc
	s_cbranch_execz .LBB97_18
; %bb.17:
	v_mov_b32_e32 v4, 0
	ds_read_b128 v[0:3], v4
	s_waitcnt lgkmcnt(0)
	v_cmp_lt_f64_e64 s[0:1], v[0:1], v[2:3]
	v_cndmask_b32_e64 v1, v1, v3, s[0:1]
	v_cndmask_b32_e64 v0, v0, v2, s[0:1]
	ds_write_b64 v4, v[0:1]
.LBB97_18:
	s_or_b64 exec, exec, s[2:3]
	s_waitcnt lgkmcnt(0)
	s_barrier
	s_and_saveexec_b64 s[0:1], vcc
	s_cbranch_execz .LBB97_30
; %bb.19:
	s_load_dwordx4 s[4:7], s[4:5], 0x10
	v_mov_b32_e32 v6, 0
	ds_read_b64 v[0:1], v6
	s_mov_b64 s[2:3], 0
	s_waitcnt lgkmcnt(0)
	s_cmp_eq_u64 s[6:7], 0
	s_cbranch_scc1 .LBB97_25
; %bb.20:
	s_load_dwordx2 s[0:1], s[6:7], 0x0
	global_load_dwordx2 v[4:5], v6, s[4:5] glc
                                        ; implicit-def: $sgpr8_sgpr9
	s_waitcnt lgkmcnt(0)
	v_div_scale_f64 v[2:3], s[6:7], s[0:1], s[0:1], v[0:1]
	v_rcp_f64_e32 v[8:9], v[2:3]
	v_div_scale_f64 v[10:11], vcc, v[0:1], s[0:1], v[0:1]
	s_mov_b32 s6, 0
	v_fma_f64 v[12:13], -v[2:3], v[8:9], 1.0
	v_fmac_f64_e32 v[8:9], v[8:9], v[12:13]
	v_fma_f64 v[12:13], -v[2:3], v[8:9], 1.0
	v_fmac_f64_e32 v[8:9], v[8:9], v[12:13]
	v_mul_f64 v[12:13], v[10:11], v[8:9]
	v_fma_f64 v[2:3], -v[2:3], v[12:13], v[10:11]
	v_div_fmas_f64 v[2:3], v[2:3], v[8:9], v[12:13]
	s_brev_b32 s7, 1
	v_div_fixup_f64 v[2:3], v[2:3], s[0:1], v[0:1]
	v_cmp_eq_f64_e32 vcc, 0, v[2:3]
	s_waitcnt vmcnt(0)
	v_cmp_eq_u64_e64 s[10:11], s[6:7], v[4:5]
                                        ; implicit-def: $sgpr6_sgpr7
	s_branch .LBB97_22
.LBB97_21:                              ;   in Loop: Header=BB97_22 Depth=1
	s_or_b64 exec, exec, s[12:13]
	s_and_b64 s[0:1], exec, s[6:7]
	s_or_b64 s[2:3], s[0:1], s[2:3]
	s_andn2_b64 s[0:1], s[10:11], exec
	s_and_b64 s[10:11], s[8:9], exec
	s_or_b64 s[10:11], s[0:1], s[10:11]
	s_andn2_b64 exec, exec, s[2:3]
	s_cbranch_execz .LBB97_24
.LBB97_22:                              ; =>This Inner Loop Header: Depth=1
	v_cmp_lt_f64_e64 s[0:1], v[4:5], v[2:3]
	s_and_b64 s[12:13], vcc, s[10:11]
	s_or_b64 s[0:1], s[0:1], s[12:13]
	s_andn2_b64 s[8:9], s[8:9], exec
	s_or_b64 s[6:7], s[6:7], exec
	s_and_saveexec_b64 s[12:13], s[0:1]
	s_cbranch_execz .LBB97_21
; %bb.23:                               ;   in Loop: Header=BB97_22 Depth=1
	global_atomic_cmpswap_x2 v[8:9], v6, v[2:5], s[4:5] glc
	s_andn2_b64 s[6:7], s[6:7], exec
	s_andn2_b64 s[8:9], s[8:9], exec
                                        ; implicit-def: $sgpr10_sgpr11
	s_waitcnt vmcnt(0)
	v_cmp_eq_u64_e64 s[0:1], v[8:9], v[4:5]
	v_cndmask_b32_e64 v5, v9, v5, s[0:1]
	v_cndmask_b32_e64 v4, v8, v4, s[0:1]
	s_and_b64 s[0:1], s[0:1], exec
	v_cmp_class_f64_e64 s[14:15], v[4:5], 32
	s_or_b64 s[6:7], s[6:7], s[0:1]
	s_and_b64 s[0:1], s[14:15], exec
	s_or_b64 s[8:9], s[8:9], s[0:1]
	v_pk_mov_b32 v[4:5], v[8:9], v[8:9] op_sel:[0,1]
	s_branch .LBB97_21
.LBB97_24:
	s_or_b64 exec, exec, s[2:3]
	s_branch .LBB97_30
.LBB97_25:
	s_cbranch_execz .LBB97_30
; %bb.26:
	v_mov_b32_e32 v4, 0
	global_load_dwordx2 v[2:3], v4, s[4:5] glc
	s_mov_b32 s0, 0
	s_brev_b32 s1, 1
	s_mov_b64 s[2:3], 0
	v_cmp_eq_f64_e32 vcc, 0, v[0:1]
                                        ; implicit-def: $sgpr6_sgpr7
                                        ; implicit-def: $sgpr8_sgpr9
	s_waitcnt vmcnt(0)
	v_cmp_eq_u64_e64 s[10:11], s[0:1], v[2:3]
	s_branch .LBB97_28
.LBB97_27:                              ;   in Loop: Header=BB97_28 Depth=1
	s_or_b64 exec, exec, s[12:13]
	s_and_b64 s[0:1], exec, s[6:7]
	s_or_b64 s[2:3], s[0:1], s[2:3]
	s_andn2_b64 s[0:1], s[10:11], exec
	s_and_b64 s[10:11], s[8:9], exec
	s_or_b64 s[10:11], s[0:1], s[10:11]
	s_andn2_b64 exec, exec, s[2:3]
	s_cbranch_execz .LBB97_30
.LBB97_28:                              ; =>This Inner Loop Header: Depth=1
	v_cmp_lt_f64_e64 s[0:1], v[2:3], v[0:1]
	s_and_b64 s[12:13], vcc, s[10:11]
	s_or_b64 s[0:1], s[0:1], s[12:13]
	s_andn2_b64 s[8:9], s[8:9], exec
	s_or_b64 s[6:7], s[6:7], exec
	s_and_saveexec_b64 s[12:13], s[0:1]
	s_cbranch_execz .LBB97_27
; %bb.29:                               ;   in Loop: Header=BB97_28 Depth=1
	global_atomic_cmpswap_x2 v[6:7], v4, v[0:3], s[4:5] glc
	s_andn2_b64 s[6:7], s[6:7], exec
	s_andn2_b64 s[8:9], s[8:9], exec
                                        ; implicit-def: $sgpr10_sgpr11
	s_waitcnt vmcnt(0)
	v_cmp_eq_u64_e64 s[0:1], v[6:7], v[2:3]
	v_cndmask_b32_e64 v3, v7, v3, s[0:1]
	v_cndmask_b32_e64 v2, v6, v2, s[0:1]
	s_and_b64 s[0:1], s[0:1], exec
	v_cmp_class_f64_e64 s[14:15], v[2:3], 32
	s_or_b64 s[6:7], s[6:7], s[0:1]
	s_and_b64 s[0:1], s[14:15], exec
	s_or_b64 s[8:9], s[8:9], s[0:1]
	v_pk_mov_b32 v[2:3], v[6:7], v[6:7] op_sel:[0,1]
	s_branch .LBB97_27
.LBB97_30:
	s_endpgm
	.section	.rodata,"a",@progbits
	.p2align	6, 0x0
	.amdhsa_kernel _ZN9rocsparseL13kernel_nrminfILj256EdEEvmPKT0_PNS_15floating_traitsIS1_E6data_tEPKS6_
		.amdhsa_group_segment_fixed_size 2048
		.amdhsa_private_segment_fixed_size 0
		.amdhsa_kernarg_size 32
		.amdhsa_user_sgpr_count 6
		.amdhsa_user_sgpr_private_segment_buffer 1
		.amdhsa_user_sgpr_dispatch_ptr 0
		.amdhsa_user_sgpr_queue_ptr 0
		.amdhsa_user_sgpr_kernarg_segment_ptr 1
		.amdhsa_user_sgpr_dispatch_id 0
		.amdhsa_user_sgpr_flat_scratch_init 0
		.amdhsa_user_sgpr_kernarg_preload_length 0
		.amdhsa_user_sgpr_kernarg_preload_offset 0
		.amdhsa_user_sgpr_private_segment_size 0
		.amdhsa_uses_dynamic_stack 0
		.amdhsa_system_sgpr_private_segment_wavefront_offset 0
		.amdhsa_system_sgpr_workgroup_id_x 1
		.amdhsa_system_sgpr_workgroup_id_y 0
		.amdhsa_system_sgpr_workgroup_id_z 0
		.amdhsa_system_sgpr_workgroup_info 0
		.amdhsa_system_vgpr_workitem_id 0
		.amdhsa_next_free_vgpr 14
		.amdhsa_next_free_sgpr 16
		.amdhsa_accum_offset 16
		.amdhsa_reserve_vcc 1
		.amdhsa_reserve_flat_scratch 0
		.amdhsa_float_round_mode_32 0
		.amdhsa_float_round_mode_16_64 0
		.amdhsa_float_denorm_mode_32 3
		.amdhsa_float_denorm_mode_16_64 3
		.amdhsa_dx10_clamp 1
		.amdhsa_ieee_mode 1
		.amdhsa_fp16_overflow 0
		.amdhsa_tg_split 0
		.amdhsa_exception_fp_ieee_invalid_op 0
		.amdhsa_exception_fp_denorm_src 0
		.amdhsa_exception_fp_ieee_div_zero 0
		.amdhsa_exception_fp_ieee_overflow 0
		.amdhsa_exception_fp_ieee_underflow 0
		.amdhsa_exception_fp_ieee_inexact 0
		.amdhsa_exception_int_div_zero 0
	.end_amdhsa_kernel
	.section	.text._ZN9rocsparseL13kernel_nrminfILj256EdEEvmPKT0_PNS_15floating_traitsIS1_E6data_tEPKS6_,"axG",@progbits,_ZN9rocsparseL13kernel_nrminfILj256EdEEvmPKT0_PNS_15floating_traitsIS1_E6data_tEPKS6_,comdat
.Lfunc_end97:
	.size	_ZN9rocsparseL13kernel_nrminfILj256EdEEvmPKT0_PNS_15floating_traitsIS1_E6data_tEPKS6_, .Lfunc_end97-_ZN9rocsparseL13kernel_nrminfILj256EdEEvmPKT0_PNS_15floating_traitsIS1_E6data_tEPKS6_
                                        ; -- End function
	.section	.AMDGPU.csdata,"",@progbits
; Kernel info:
; codeLenInByte = 1104
; NumSgprs: 20
; NumVgprs: 14
; NumAgprs: 0
; TotalNumVgprs: 14
; ScratchSize: 0
; MemoryBound: 0
; FloatMode: 240
; IeeeMode: 1
; LDSByteSize: 2048 bytes/workgroup (compile time only)
; SGPRBlocks: 2
; VGPRBlocks: 1
; NumSGPRsForWavesPerEU: 20
; NumVGPRsForWavesPerEU: 14
; AccumOffset: 16
; Occupancy: 8
; WaveLimiterHint : 0
; COMPUTE_PGM_RSRC2:SCRATCH_EN: 0
; COMPUTE_PGM_RSRC2:USER_SGPR: 6
; COMPUTE_PGM_RSRC2:TRAP_HANDLER: 0
; COMPUTE_PGM_RSRC2:TGID_X_EN: 1
; COMPUTE_PGM_RSRC2:TGID_Y_EN: 0
; COMPUTE_PGM_RSRC2:TGID_Z_EN: 0
; COMPUTE_PGM_RSRC2:TIDIG_COMP_CNT: 0
; COMPUTE_PGM_RSRC3_GFX90A:ACCUM_OFFSET: 3
; COMPUTE_PGM_RSRC3_GFX90A:TG_SPLIT: 0
	.section	.text._ZN9rocsparseL18kernel_nrminf_diffILj256E21rocsparse_complex_numIfEEEvmPKT0_S5_PNS_15floating_traitsIS3_E6data_tEPKS8_,"axG",@progbits,_ZN9rocsparseL18kernel_nrminf_diffILj256E21rocsparse_complex_numIfEEEvmPKT0_S5_PNS_15floating_traitsIS3_E6data_tEPKS8_,comdat
	.globl	_ZN9rocsparseL18kernel_nrminf_diffILj256E21rocsparse_complex_numIfEEEvmPKT0_S5_PNS_15floating_traitsIS3_E6data_tEPKS8_ ; -- Begin function _ZN9rocsparseL18kernel_nrminf_diffILj256E21rocsparse_complex_numIfEEEvmPKT0_S5_PNS_15floating_traitsIS3_E6data_tEPKS8_
	.p2align	8
	.type	_ZN9rocsparseL18kernel_nrminf_diffILj256E21rocsparse_complex_numIfEEEvmPKT0_S5_PNS_15floating_traitsIS3_E6data_tEPKS8_,@function
_ZN9rocsparseL18kernel_nrminf_diffILj256E21rocsparse_complex_numIfEEEvmPKT0_S5_PNS_15floating_traitsIS3_E6data_tEPKS8_: ; @_ZN9rocsparseL18kernel_nrminf_diffILj256E21rocsparse_complex_numIfEEEvmPKT0_S5_PNS_15floating_traitsIS3_E6data_tEPKS8_
; %bb.0:
	s_load_dwordx2 s[0:1], s[4:5], 0x0
	v_lshl_or_b32 v2, s6, 8, v0
	v_mov_b32_e32 v3, 0
	s_waitcnt lgkmcnt(0)
	v_cmp_gt_u64_e32 vcc, s[0:1], v[2:3]
	s_and_saveexec_b64 s[2:3], vcc
	s_cbranch_execz .LBB98_8
; %bb.1:
	s_load_dwordx4 s[8:11], s[4:5], 0x8
	v_lshlrev_b64 v[2:3], 3, v[2:3]
	s_waitcnt lgkmcnt(0)
	v_mov_b32_e32 v1, s9
	v_add_co_u32_e32 v4, vcc, s8, v2
	v_addc_co_u32_e32 v5, vcc, v1, v3, vcc
	v_mov_b32_e32 v1, s11
	v_add_co_u32_e32 v2, vcc, s10, v2
	v_addc_co_u32_e32 v3, vcc, v1, v3, vcc
	global_load_dwordx2 v[6:7], v[4:5], off
	global_load_dwordx2 v[8:9], v[2:3], off
                                        ; implicit-def: $vgpr3
	s_waitcnt vmcnt(0)
	v_sub_f32_e32 v1, v6, v8
	v_sub_f32_e32 v4, v7, v9
	v_cmp_gt_f32_e32 vcc, 0, v1
	v_cndmask_b32_e64 v1, v1, -v1, vcc
	v_cmp_gt_f32_e32 vcc, 0, v4
	v_cndmask_b32_e64 v2, v4, -v4, vcc
	v_cmp_ngt_f32_e32 vcc, v1, v2
	s_and_saveexec_b64 s[0:1], vcc
	s_xor_b64 s[6:7], exec, s[0:1]
	s_cbranch_execz .LBB98_5
; %bb.2:
	v_cmp_neq_f32_e32 vcc, 0, v4
	v_mov_b32_e32 v3, 0
	s_and_saveexec_b64 s[8:9], vcc
	s_cbranch_execz .LBB98_4
; %bb.3:
	v_div_scale_f32 v3, s[0:1], v2, v2, v1
	v_rcp_f32_e32 v4, v3
	v_div_scale_f32 v5, vcc, v1, v2, v1
	s_mov_b32 s0, 0xf800000
	v_fma_f32 v6, -v3, v4, 1.0
	v_fmac_f32_e32 v4, v6, v4
	v_mul_f32_e32 v6, v5, v4
	v_fma_f32 v7, -v3, v6, v5
	v_fmac_f32_e32 v6, v7, v4
	v_fma_f32 v3, -v3, v6, v5
	v_div_fmas_f32 v3, v3, v4, v6
	v_div_fixup_f32 v1, v3, v2, v1
	v_fma_f32 v1, v1, v1, 1.0
	v_mul_f32_e32 v3, 0x4f800000, v1
	v_cmp_gt_f32_e32 vcc, s0, v1
	v_cndmask_b32_e32 v1, v1, v3, vcc
	v_sqrt_f32_e32 v3, v1
	v_add_u32_e32 v4, -1, v3
	v_fma_f32 v5, -v4, v3, v1
	v_cmp_ge_f32_e64 s[0:1], 0, v5
	v_add_u32_e32 v5, 1, v3
	v_cndmask_b32_e64 v4, v3, v4, s[0:1]
	v_fma_f32 v3, -v5, v3, v1
	v_cmp_lt_f32_e64 s[0:1], 0, v3
	v_cndmask_b32_e64 v3, v4, v5, s[0:1]
	v_mul_f32_e32 v4, 0x37800000, v3
	v_cndmask_b32_e32 v3, v3, v4, vcc
	v_mov_b32_e32 v4, 0x260
	v_cmp_class_f32_e32 vcc, v1, v4
	v_cndmask_b32_e32 v1, v3, v1, vcc
	v_mul_f32_e32 v3, v2, v1
.LBB98_4:
	s_or_b64 exec, exec, s[8:9]
                                        ; implicit-def: $vgpr1
                                        ; implicit-def: $vgpr2
.LBB98_5:
	s_andn2_saveexec_b64 s[6:7], s[6:7]
	s_cbranch_execz .LBB98_7
; %bb.6:
	v_div_scale_f32 v3, s[0:1], v1, v1, v2
	v_rcp_f32_e32 v4, v3
	v_div_scale_f32 v5, vcc, v2, v1, v2
	s_mov_b32 s0, 0xf800000
	v_fma_f32 v6, -v3, v4, 1.0
	v_fmac_f32_e32 v4, v6, v4
	v_mul_f32_e32 v6, v5, v4
	v_fma_f32 v7, -v3, v6, v5
	v_fmac_f32_e32 v6, v7, v4
	v_fma_f32 v3, -v3, v6, v5
	v_div_fmas_f32 v3, v3, v4, v6
	v_div_fixup_f32 v2, v3, v1, v2
	v_fma_f32 v2, v2, v2, 1.0
	v_mul_f32_e32 v3, 0x4f800000, v2
	v_cmp_gt_f32_e32 vcc, s0, v2
	v_cndmask_b32_e32 v2, v2, v3, vcc
	v_sqrt_f32_e32 v3, v2
	v_add_u32_e32 v4, -1, v3
	v_fma_f32 v5, -v4, v3, v2
	v_cmp_ge_f32_e64 s[0:1], 0, v5
	v_add_u32_e32 v5, 1, v3
	v_cndmask_b32_e64 v4, v3, v4, s[0:1]
	v_fma_f32 v3, -v5, v3, v2
	v_cmp_lt_f32_e64 s[0:1], 0, v3
	v_cndmask_b32_e64 v3, v4, v5, s[0:1]
	v_mul_f32_e32 v4, 0x37800000, v3
	v_cndmask_b32_e32 v3, v3, v4, vcc
	v_mov_b32_e32 v4, 0x260
	v_cmp_class_f32_e32 vcc, v2, v4
	v_cndmask_b32_e32 v2, v3, v2, vcc
	v_mul_f32_e32 v3, v1, v2
.LBB98_7:
	s_or_b64 exec, exec, s[6:7]
.LBB98_8:
	s_or_b64 exec, exec, s[2:3]
	s_movk_i32 s0, 0x80
	v_lshlrev_b32_e32 v1, 2, v0
	v_cmp_gt_u32_e32 vcc, s0, v0
	ds_write_b32 v1, v3
	s_waitcnt lgkmcnt(0)
	s_barrier
	s_and_saveexec_b64 s[0:1], vcc
	s_cbranch_execz .LBB98_10
; %bb.9:
	ds_read2st64_b32 v[2:3], v1 offset1:2
	s_waitcnt lgkmcnt(0)
	v_cmp_lt_f32_e32 vcc, v2, v3
	v_cndmask_b32_e32 v2, v2, v3, vcc
	ds_write_b32 v1, v2
.LBB98_10:
	s_or_b64 exec, exec, s[0:1]
	v_cmp_gt_u32_e32 vcc, 64, v0
	s_waitcnt lgkmcnt(0)
	s_barrier
	s_and_saveexec_b64 s[0:1], vcc
	s_cbranch_execz .LBB98_12
; %bb.11:
	ds_read2st64_b32 v[2:3], v1 offset1:1
	s_waitcnt lgkmcnt(0)
	v_cmp_lt_f32_e32 vcc, v2, v3
	v_cndmask_b32_e32 v2, v2, v3, vcc
	ds_write_b32 v1, v2
.LBB98_12:
	s_or_b64 exec, exec, s[0:1]
	v_cmp_gt_u32_e32 vcc, 32, v0
	s_waitcnt lgkmcnt(0)
	s_barrier
	s_and_saveexec_b64 s[0:1], vcc
	s_cbranch_execz .LBB98_14
; %bb.13:
	ds_read2_b32 v[2:3], v1 offset1:32
	s_waitcnt lgkmcnt(0)
	v_cmp_lt_f32_e32 vcc, v2, v3
	v_cndmask_b32_e32 v2, v2, v3, vcc
	ds_write_b32 v1, v2
.LBB98_14:
	s_or_b64 exec, exec, s[0:1]
	v_cmp_gt_u32_e32 vcc, 16, v0
	s_waitcnt lgkmcnt(0)
	s_barrier
	s_and_saveexec_b64 s[0:1], vcc
	s_cbranch_execz .LBB98_16
; %bb.15:
	ds_read2_b32 v[2:3], v1 offset1:16
	s_waitcnt lgkmcnt(0)
	v_cmp_lt_f32_e32 vcc, v2, v3
	v_cndmask_b32_e32 v2, v2, v3, vcc
	ds_write_b32 v1, v2
.LBB98_16:
	s_or_b64 exec, exec, s[0:1]
	v_cmp_gt_u32_e32 vcc, 8, v0
	s_waitcnt lgkmcnt(0)
	s_barrier
	s_and_saveexec_b64 s[0:1], vcc
	s_cbranch_execz .LBB98_18
; %bb.17:
	ds_read2_b32 v[2:3], v1 offset1:8
	s_waitcnt lgkmcnt(0)
	v_cmp_lt_f32_e32 vcc, v2, v3
	v_cndmask_b32_e32 v2, v2, v3, vcc
	ds_write_b32 v1, v2
.LBB98_18:
	s_or_b64 exec, exec, s[0:1]
	v_cmp_gt_u32_e32 vcc, 4, v0
	s_waitcnt lgkmcnt(0)
	s_barrier
	s_and_saveexec_b64 s[0:1], vcc
	s_cbranch_execz .LBB98_20
; %bb.19:
	ds_read2_b32 v[2:3], v1 offset1:4
	s_waitcnt lgkmcnt(0)
	v_cmp_lt_f32_e32 vcc, v2, v3
	v_cndmask_b32_e32 v2, v2, v3, vcc
	ds_write_b32 v1, v2
.LBB98_20:
	s_or_b64 exec, exec, s[0:1]
	v_cmp_gt_u32_e32 vcc, 2, v0
	s_waitcnt lgkmcnt(0)
	s_barrier
	s_and_saveexec_b64 s[0:1], vcc
	s_cbranch_execz .LBB98_22
; %bb.21:
	ds_read2_b32 v[2:3], v1 offset1:2
	s_waitcnt lgkmcnt(0)
	v_cmp_lt_f32_e32 vcc, v2, v3
	v_cndmask_b32_e32 v2, v2, v3, vcc
	ds_write_b32 v1, v2
.LBB98_22:
	s_or_b64 exec, exec, s[0:1]
	v_cmp_eq_u32_e32 vcc, 0, v0
	s_waitcnt lgkmcnt(0)
	s_barrier
	s_and_saveexec_b64 s[2:3], vcc
	s_cbranch_execz .LBB98_24
; %bb.23:
	v_mov_b32_e32 v2, 0
	ds_read_b64 v[0:1], v2
	s_waitcnt lgkmcnt(0)
	v_cmp_lt_f32_e64 s[0:1], v0, v1
	v_cndmask_b32_e64 v0, v0, v1, s[0:1]
	ds_write_b32 v2, v0
.LBB98_24:
	s_or_b64 exec, exec, s[2:3]
	s_waitcnt lgkmcnt(0)
	s_barrier
	s_and_saveexec_b64 s[0:1], vcc
	s_cbranch_execz .LBB98_36
; %bb.25:
	s_load_dwordx4 s[4:7], s[4:5], 0x18
	v_mov_b32_e32 v1, 0
	ds_read_b32 v0, v1
	s_mov_b64 s[2:3], 0
	s_waitcnt lgkmcnt(0)
	s_cmp_eq_u64 s[6:7], 0
	s_cbranch_scc1 .LBB98_31
; %bb.26:
	s_load_dword s6, s[6:7], 0x0
	global_load_dword v3, v1, s[4:5] glc
                                        ; implicit-def: $sgpr10_sgpr11
	s_waitcnt lgkmcnt(0)
	v_div_scale_f32 v2, s[0:1], s6, s6, v0
	v_rcp_f32_e32 v4, v2
	v_div_scale_f32 v5, vcc, v0, s6, v0
	s_brev_b32 s0, 1
	v_fma_f32 v6, -v2, v4, 1.0
	v_fmac_f32_e32 v4, v6, v4
	v_mul_f32_e32 v6, v5, v4
	v_fma_f32 v7, -v2, v6, v5
	v_fmac_f32_e32 v6, v7, v4
	v_fma_f32 v2, -v2, v6, v5
	v_div_fmas_f32 v2, v2, v4, v6
	v_div_fixup_f32 v2, v2, s6, v0
	v_cmp_eq_f32_e32 vcc, 0, v2
                                        ; implicit-def: $sgpr6_sgpr7
	s_waitcnt vmcnt(0)
	v_cmp_eq_u32_e64 s[8:9], s0, v3
	s_branch .LBB98_28
.LBB98_27:                              ;   in Loop: Header=BB98_28 Depth=1
	s_or_b64 exec, exec, s[12:13]
	s_and_b64 s[0:1], exec, s[6:7]
	s_or_b64 s[2:3], s[0:1], s[2:3]
	s_andn2_b64 s[0:1], s[8:9], exec
	s_and_b64 s[8:9], s[10:11], exec
	s_or_b64 s[8:9], s[0:1], s[8:9]
	s_andn2_b64 exec, exec, s[2:3]
	s_cbranch_execz .LBB98_30
.LBB98_28:                              ; =>This Inner Loop Header: Depth=1
	v_cmp_lt_f32_e64 s[0:1], v3, v2
	s_and_b64 s[12:13], vcc, s[8:9]
	s_or_b64 s[0:1], s[0:1], s[12:13]
	s_andn2_b64 s[10:11], s[10:11], exec
	s_or_b64 s[6:7], s[6:7], exec
	s_and_saveexec_b64 s[12:13], s[0:1]
	s_cbranch_execz .LBB98_27
; %bb.29:                               ;   in Loop: Header=BB98_28 Depth=1
	global_atomic_cmpswap v4, v1, v[2:3], s[4:5] glc
	s_andn2_b64 s[10:11], s[10:11], exec
	s_andn2_b64 s[6:7], s[6:7], exec
                                        ; implicit-def: $sgpr8_sgpr9
	s_waitcnt vmcnt(0)
	v_cmp_eq_u32_e64 s[0:1], v4, v3
	v_cndmask_b32_e64 v3, v4, v3, s[0:1]
	v_cmp_class_f32_e64 s[14:15], v3, 32
	s_and_b64 s[0:1], s[0:1], exec
	s_and_b64 s[14:15], s[14:15], exec
	s_or_b64 s[6:7], s[6:7], s[0:1]
	s_or_b64 s[10:11], s[10:11], s[14:15]
	v_mov_b32_e32 v3, v4
	s_branch .LBB98_27
.LBB98_30:
	s_or_b64 exec, exec, s[2:3]
	s_branch .LBB98_36
.LBB98_31:
	s_cbranch_execz .LBB98_36
; %bb.32:
	v_mov_b32_e32 v2, 0
	global_load_dword v1, v2, s[4:5] glc
	s_brev_b32 s0, 1
	v_cmp_eq_f32_e32 vcc, 0, v0
	s_mov_b64 s[2:3], 0
                                        ; implicit-def: $sgpr6_sgpr7
                                        ; implicit-def: $sgpr10_sgpr11
	s_waitcnt vmcnt(0)
	v_cmp_eq_u32_e64 s[8:9], s0, v1
	s_branch .LBB98_34
.LBB98_33:                              ;   in Loop: Header=BB98_34 Depth=1
	s_or_b64 exec, exec, s[12:13]
	s_and_b64 s[0:1], exec, s[6:7]
	s_or_b64 s[2:3], s[0:1], s[2:3]
	s_andn2_b64 s[0:1], s[8:9], exec
	s_and_b64 s[8:9], s[10:11], exec
	s_or_b64 s[8:9], s[0:1], s[8:9]
	s_andn2_b64 exec, exec, s[2:3]
	s_cbranch_execz .LBB98_36
.LBB98_34:                              ; =>This Inner Loop Header: Depth=1
	v_cmp_lt_f32_e64 s[0:1], v1, v0
	s_and_b64 s[12:13], vcc, s[8:9]
	s_or_b64 s[0:1], s[0:1], s[12:13]
	s_andn2_b64 s[10:11], s[10:11], exec
	s_or_b64 s[6:7], s[6:7], exec
	s_and_saveexec_b64 s[12:13], s[0:1]
	s_cbranch_execz .LBB98_33
; %bb.35:                               ;   in Loop: Header=BB98_34 Depth=1
	global_atomic_cmpswap v3, v2, v[0:1], s[4:5] glc
	s_andn2_b64 s[10:11], s[10:11], exec
	s_andn2_b64 s[6:7], s[6:7], exec
                                        ; implicit-def: $sgpr8_sgpr9
	s_waitcnt vmcnt(0)
	v_cmp_eq_u32_e64 s[0:1], v3, v1
	v_cndmask_b32_e64 v1, v3, v1, s[0:1]
	v_cmp_class_f32_e64 s[14:15], v1, 32
	s_and_b64 s[0:1], s[0:1], exec
	s_and_b64 s[14:15], s[14:15], exec
	s_or_b64 s[6:7], s[6:7], s[0:1]
	s_or_b64 s[10:11], s[10:11], s[14:15]
	v_mov_b32_e32 v1, v3
	s_branch .LBB98_33
.LBB98_36:
	s_endpgm
	.section	.rodata,"a",@progbits
	.p2align	6, 0x0
	.amdhsa_kernel _ZN9rocsparseL18kernel_nrminf_diffILj256E21rocsparse_complex_numIfEEEvmPKT0_S5_PNS_15floating_traitsIS3_E6data_tEPKS8_
		.amdhsa_group_segment_fixed_size 1024
		.amdhsa_private_segment_fixed_size 0
		.amdhsa_kernarg_size 40
		.amdhsa_user_sgpr_count 6
		.amdhsa_user_sgpr_private_segment_buffer 1
		.amdhsa_user_sgpr_dispatch_ptr 0
		.amdhsa_user_sgpr_queue_ptr 0
		.amdhsa_user_sgpr_kernarg_segment_ptr 1
		.amdhsa_user_sgpr_dispatch_id 0
		.amdhsa_user_sgpr_flat_scratch_init 0
		.amdhsa_user_sgpr_kernarg_preload_length 0
		.amdhsa_user_sgpr_kernarg_preload_offset 0
		.amdhsa_user_sgpr_private_segment_size 0
		.amdhsa_uses_dynamic_stack 0
		.amdhsa_system_sgpr_private_segment_wavefront_offset 0
		.amdhsa_system_sgpr_workgroup_id_x 1
		.amdhsa_system_sgpr_workgroup_id_y 0
		.amdhsa_system_sgpr_workgroup_id_z 0
		.amdhsa_system_sgpr_workgroup_info 0
		.amdhsa_system_vgpr_workitem_id 0
		.amdhsa_next_free_vgpr 10
		.amdhsa_next_free_sgpr 16
		.amdhsa_accum_offset 12
		.amdhsa_reserve_vcc 1
		.amdhsa_reserve_flat_scratch 0
		.amdhsa_float_round_mode_32 0
		.amdhsa_float_round_mode_16_64 0
		.amdhsa_float_denorm_mode_32 3
		.amdhsa_float_denorm_mode_16_64 3
		.amdhsa_dx10_clamp 1
		.amdhsa_ieee_mode 1
		.amdhsa_fp16_overflow 0
		.amdhsa_tg_split 0
		.amdhsa_exception_fp_ieee_invalid_op 0
		.amdhsa_exception_fp_denorm_src 0
		.amdhsa_exception_fp_ieee_div_zero 0
		.amdhsa_exception_fp_ieee_overflow 0
		.amdhsa_exception_fp_ieee_underflow 0
		.amdhsa_exception_fp_ieee_inexact 0
		.amdhsa_exception_int_div_zero 0
	.end_amdhsa_kernel
	.section	.text._ZN9rocsparseL18kernel_nrminf_diffILj256E21rocsparse_complex_numIfEEEvmPKT0_S5_PNS_15floating_traitsIS3_E6data_tEPKS8_,"axG",@progbits,_ZN9rocsparseL18kernel_nrminf_diffILj256E21rocsparse_complex_numIfEEEvmPKT0_S5_PNS_15floating_traitsIS3_E6data_tEPKS8_,comdat
.Lfunc_end98:
	.size	_ZN9rocsparseL18kernel_nrminf_diffILj256E21rocsparse_complex_numIfEEEvmPKT0_S5_PNS_15floating_traitsIS3_E6data_tEPKS8_, .Lfunc_end98-_ZN9rocsparseL18kernel_nrminf_diffILj256E21rocsparse_complex_numIfEEEvmPKT0_S5_PNS_15floating_traitsIS3_E6data_tEPKS8_
                                        ; -- End function
	.section	.AMDGPU.csdata,"",@progbits
; Kernel info:
; codeLenInByte = 1508
; NumSgprs: 20
; NumVgprs: 10
; NumAgprs: 0
; TotalNumVgprs: 10
; ScratchSize: 0
; MemoryBound: 0
; FloatMode: 240
; IeeeMode: 1
; LDSByteSize: 1024 bytes/workgroup (compile time only)
; SGPRBlocks: 2
; VGPRBlocks: 1
; NumSGPRsForWavesPerEU: 20
; NumVGPRsForWavesPerEU: 10
; AccumOffset: 12
; Occupancy: 8
; WaveLimiterHint : 0
; COMPUTE_PGM_RSRC2:SCRATCH_EN: 0
; COMPUTE_PGM_RSRC2:USER_SGPR: 6
; COMPUTE_PGM_RSRC2:TRAP_HANDLER: 0
; COMPUTE_PGM_RSRC2:TGID_X_EN: 1
; COMPUTE_PGM_RSRC2:TGID_Y_EN: 0
; COMPUTE_PGM_RSRC2:TGID_Z_EN: 0
; COMPUTE_PGM_RSRC2:TIDIG_COMP_CNT: 0
; COMPUTE_PGM_RSRC3_GFX90A:ACCUM_OFFSET: 2
; COMPUTE_PGM_RSRC3_GFX90A:TG_SPLIT: 0
	.section	.text._ZN9rocsparseL13kernel_nrminfILj256E21rocsparse_complex_numIfEEEvmPKT0_PNS_15floating_traitsIS3_E6data_tEPKS8_,"axG",@progbits,_ZN9rocsparseL13kernel_nrminfILj256E21rocsparse_complex_numIfEEEvmPKT0_PNS_15floating_traitsIS3_E6data_tEPKS8_,comdat
	.globl	_ZN9rocsparseL13kernel_nrminfILj256E21rocsparse_complex_numIfEEEvmPKT0_PNS_15floating_traitsIS3_E6data_tEPKS8_ ; -- Begin function _ZN9rocsparseL13kernel_nrminfILj256E21rocsparse_complex_numIfEEEvmPKT0_PNS_15floating_traitsIS3_E6data_tEPKS8_
	.p2align	8
	.type	_ZN9rocsparseL13kernel_nrminfILj256E21rocsparse_complex_numIfEEEvmPKT0_PNS_15floating_traitsIS3_E6data_tEPKS8_,@function
_ZN9rocsparseL13kernel_nrminfILj256E21rocsparse_complex_numIfEEEvmPKT0_PNS_15floating_traitsIS3_E6data_tEPKS8_: ; @_ZN9rocsparseL13kernel_nrminfILj256E21rocsparse_complex_numIfEEEvmPKT0_PNS_15floating_traitsIS3_E6data_tEPKS8_
; %bb.0:
	s_load_dwordx2 s[0:1], s[4:5], 0x0
	v_lshl_or_b32 v2, s6, 8, v0
	v_mov_b32_e32 v3, 0
	s_waitcnt lgkmcnt(0)
	v_cmp_gt_u64_e32 vcc, s[0:1], v[2:3]
	s_and_saveexec_b64 s[2:3], vcc
	s_cbranch_execz .LBB99_8
; %bb.1:
	s_load_dwordx2 s[0:1], s[4:5], 0x8
	v_lshlrev_b64 v[2:3], 3, v[2:3]
	s_waitcnt lgkmcnt(0)
	v_mov_b32_e32 v1, s1
	v_add_co_u32_e32 v2, vcc, s0, v2
	v_addc_co_u32_e32 v3, vcc, v1, v3, vcc
	global_load_dwordx2 v[4:5], v[2:3], off
                                        ; implicit-def: $vgpr3
	s_waitcnt vmcnt(0)
	v_cmp_gt_f32_e32 vcc, 0, v4
	v_cndmask_b32_e64 v1, v4, -v4, vcc
	v_cmp_gt_f32_e32 vcc, 0, v5
	v_cndmask_b32_e64 v2, v5, -v5, vcc
	v_cmp_ngt_f32_e32 vcc, v1, v2
	s_and_saveexec_b64 s[0:1], vcc
	s_xor_b64 s[6:7], exec, s[0:1]
	s_cbranch_execz .LBB99_5
; %bb.2:
	v_cmp_neq_f32_e32 vcc, 0, v5
	v_mov_b32_e32 v3, 0
	s_and_saveexec_b64 s[8:9], vcc
	s_cbranch_execz .LBB99_4
; %bb.3:
	v_div_scale_f32 v3, s[0:1], v2, v2, v1
	v_rcp_f32_e32 v4, v3
	v_div_scale_f32 v5, vcc, v1, v2, v1
	s_mov_b32 s0, 0xf800000
	v_fma_f32 v6, -v3, v4, 1.0
	v_fmac_f32_e32 v4, v6, v4
	v_mul_f32_e32 v6, v5, v4
	v_fma_f32 v7, -v3, v6, v5
	v_fmac_f32_e32 v6, v7, v4
	v_fma_f32 v3, -v3, v6, v5
	v_div_fmas_f32 v3, v3, v4, v6
	v_div_fixup_f32 v1, v3, v2, v1
	v_fma_f32 v1, v1, v1, 1.0
	v_mul_f32_e32 v3, 0x4f800000, v1
	v_cmp_gt_f32_e32 vcc, s0, v1
	v_cndmask_b32_e32 v1, v1, v3, vcc
	v_sqrt_f32_e32 v3, v1
	v_add_u32_e32 v4, -1, v3
	v_fma_f32 v5, -v4, v3, v1
	v_cmp_ge_f32_e64 s[0:1], 0, v5
	v_add_u32_e32 v5, 1, v3
	v_cndmask_b32_e64 v4, v3, v4, s[0:1]
	v_fma_f32 v3, -v5, v3, v1
	v_cmp_lt_f32_e64 s[0:1], 0, v3
	v_cndmask_b32_e64 v3, v4, v5, s[0:1]
	v_mul_f32_e32 v4, 0x37800000, v3
	v_cndmask_b32_e32 v3, v3, v4, vcc
	v_mov_b32_e32 v4, 0x260
	v_cmp_class_f32_e32 vcc, v1, v4
	v_cndmask_b32_e32 v1, v3, v1, vcc
	v_mul_f32_e32 v3, v2, v1
.LBB99_4:
	s_or_b64 exec, exec, s[8:9]
                                        ; implicit-def: $vgpr1
                                        ; implicit-def: $vgpr2
.LBB99_5:
	s_andn2_saveexec_b64 s[6:7], s[6:7]
	s_cbranch_execz .LBB99_7
; %bb.6:
	v_div_scale_f32 v3, s[0:1], v1, v1, v2
	v_rcp_f32_e32 v4, v3
	v_div_scale_f32 v5, vcc, v2, v1, v2
	s_mov_b32 s0, 0xf800000
	v_fma_f32 v6, -v3, v4, 1.0
	v_fmac_f32_e32 v4, v6, v4
	v_mul_f32_e32 v6, v5, v4
	v_fma_f32 v7, -v3, v6, v5
	v_fmac_f32_e32 v6, v7, v4
	v_fma_f32 v3, -v3, v6, v5
	v_div_fmas_f32 v3, v3, v4, v6
	v_div_fixup_f32 v2, v3, v1, v2
	v_fma_f32 v2, v2, v2, 1.0
	v_mul_f32_e32 v3, 0x4f800000, v2
	v_cmp_gt_f32_e32 vcc, s0, v2
	v_cndmask_b32_e32 v2, v2, v3, vcc
	v_sqrt_f32_e32 v3, v2
	v_add_u32_e32 v4, -1, v3
	v_fma_f32 v5, -v4, v3, v2
	v_cmp_ge_f32_e64 s[0:1], 0, v5
	v_add_u32_e32 v5, 1, v3
	v_cndmask_b32_e64 v4, v3, v4, s[0:1]
	v_fma_f32 v3, -v5, v3, v2
	v_cmp_lt_f32_e64 s[0:1], 0, v3
	v_cndmask_b32_e64 v3, v4, v5, s[0:1]
	v_mul_f32_e32 v4, 0x37800000, v3
	v_cndmask_b32_e32 v3, v3, v4, vcc
	v_mov_b32_e32 v4, 0x260
	v_cmp_class_f32_e32 vcc, v2, v4
	v_cndmask_b32_e32 v2, v3, v2, vcc
	v_mul_f32_e32 v3, v1, v2
.LBB99_7:
	s_or_b64 exec, exec, s[6:7]
.LBB99_8:
	s_or_b64 exec, exec, s[2:3]
	s_movk_i32 s0, 0x80
	v_lshlrev_b32_e32 v1, 2, v0
	v_cmp_gt_u32_e32 vcc, s0, v0
	ds_write_b32 v1, v3
	s_waitcnt lgkmcnt(0)
	s_barrier
	s_and_saveexec_b64 s[0:1], vcc
	s_cbranch_execz .LBB99_10
; %bb.9:
	ds_read2st64_b32 v[2:3], v1 offset1:2
	s_waitcnt lgkmcnt(0)
	v_cmp_lt_f32_e32 vcc, v2, v3
	v_cndmask_b32_e32 v2, v2, v3, vcc
	ds_write_b32 v1, v2
.LBB99_10:
	s_or_b64 exec, exec, s[0:1]
	v_cmp_gt_u32_e32 vcc, 64, v0
	s_waitcnt lgkmcnt(0)
	s_barrier
	s_and_saveexec_b64 s[0:1], vcc
	s_cbranch_execz .LBB99_12
; %bb.11:
	ds_read2st64_b32 v[2:3], v1 offset1:1
	s_waitcnt lgkmcnt(0)
	v_cmp_lt_f32_e32 vcc, v2, v3
	v_cndmask_b32_e32 v2, v2, v3, vcc
	ds_write_b32 v1, v2
.LBB99_12:
	s_or_b64 exec, exec, s[0:1]
	v_cmp_gt_u32_e32 vcc, 32, v0
	s_waitcnt lgkmcnt(0)
	s_barrier
	s_and_saveexec_b64 s[0:1], vcc
	s_cbranch_execz .LBB99_14
; %bb.13:
	ds_read2_b32 v[2:3], v1 offset1:32
	s_waitcnt lgkmcnt(0)
	v_cmp_lt_f32_e32 vcc, v2, v3
	v_cndmask_b32_e32 v2, v2, v3, vcc
	ds_write_b32 v1, v2
.LBB99_14:
	s_or_b64 exec, exec, s[0:1]
	v_cmp_gt_u32_e32 vcc, 16, v0
	s_waitcnt lgkmcnt(0)
	s_barrier
	s_and_saveexec_b64 s[0:1], vcc
	s_cbranch_execz .LBB99_16
; %bb.15:
	ds_read2_b32 v[2:3], v1 offset1:16
	s_waitcnt lgkmcnt(0)
	v_cmp_lt_f32_e32 vcc, v2, v3
	v_cndmask_b32_e32 v2, v2, v3, vcc
	ds_write_b32 v1, v2
.LBB99_16:
	;; [unrolled: 13-line block ×5, first 2 shown]
	s_or_b64 exec, exec, s[0:1]
	v_cmp_eq_u32_e32 vcc, 0, v0
	s_waitcnt lgkmcnt(0)
	s_barrier
	s_and_saveexec_b64 s[2:3], vcc
	s_cbranch_execz .LBB99_24
; %bb.23:
	v_mov_b32_e32 v2, 0
	ds_read_b64 v[0:1], v2
	s_waitcnt lgkmcnt(0)
	v_cmp_lt_f32_e64 s[0:1], v0, v1
	v_cndmask_b32_e64 v0, v0, v1, s[0:1]
	ds_write_b32 v2, v0
.LBB99_24:
	s_or_b64 exec, exec, s[2:3]
	s_waitcnt lgkmcnt(0)
	s_barrier
	s_and_saveexec_b64 s[0:1], vcc
	s_cbranch_execz .LBB99_36
; %bb.25:
	s_load_dwordx4 s[4:7], s[4:5], 0x10
	v_mov_b32_e32 v1, 0
	ds_read_b32 v0, v1
	s_mov_b64 s[2:3], 0
	s_waitcnt lgkmcnt(0)
	s_cmp_eq_u64 s[6:7], 0
	s_cbranch_scc1 .LBB99_31
; %bb.26:
	s_load_dword s6, s[6:7], 0x0
	global_load_dword v3, v1, s[4:5] glc
                                        ; implicit-def: $sgpr10_sgpr11
	s_waitcnt lgkmcnt(0)
	v_div_scale_f32 v2, s[0:1], s6, s6, v0
	v_rcp_f32_e32 v4, v2
	v_div_scale_f32 v5, vcc, v0, s6, v0
	s_brev_b32 s0, 1
	v_fma_f32 v6, -v2, v4, 1.0
	v_fmac_f32_e32 v4, v6, v4
	v_mul_f32_e32 v6, v5, v4
	v_fma_f32 v7, -v2, v6, v5
	v_fmac_f32_e32 v6, v7, v4
	v_fma_f32 v2, -v2, v6, v5
	v_div_fmas_f32 v2, v2, v4, v6
	v_div_fixup_f32 v2, v2, s6, v0
	v_cmp_eq_f32_e32 vcc, 0, v2
                                        ; implicit-def: $sgpr6_sgpr7
	s_waitcnt vmcnt(0)
	v_cmp_eq_u32_e64 s[8:9], s0, v3
	s_branch .LBB99_28
.LBB99_27:                              ;   in Loop: Header=BB99_28 Depth=1
	s_or_b64 exec, exec, s[12:13]
	s_and_b64 s[0:1], exec, s[6:7]
	s_or_b64 s[2:3], s[0:1], s[2:3]
	s_andn2_b64 s[0:1], s[8:9], exec
	s_and_b64 s[8:9], s[10:11], exec
	s_or_b64 s[8:9], s[0:1], s[8:9]
	s_andn2_b64 exec, exec, s[2:3]
	s_cbranch_execz .LBB99_30
.LBB99_28:                              ; =>This Inner Loop Header: Depth=1
	v_cmp_lt_f32_e64 s[0:1], v3, v2
	s_and_b64 s[12:13], vcc, s[8:9]
	s_or_b64 s[0:1], s[0:1], s[12:13]
	s_andn2_b64 s[10:11], s[10:11], exec
	s_or_b64 s[6:7], s[6:7], exec
	s_and_saveexec_b64 s[12:13], s[0:1]
	s_cbranch_execz .LBB99_27
; %bb.29:                               ;   in Loop: Header=BB99_28 Depth=1
	global_atomic_cmpswap v4, v1, v[2:3], s[4:5] glc
	s_andn2_b64 s[10:11], s[10:11], exec
	s_andn2_b64 s[6:7], s[6:7], exec
                                        ; implicit-def: $sgpr8_sgpr9
	s_waitcnt vmcnt(0)
	v_cmp_eq_u32_e64 s[0:1], v4, v3
	v_cndmask_b32_e64 v3, v4, v3, s[0:1]
	v_cmp_class_f32_e64 s[14:15], v3, 32
	s_and_b64 s[0:1], s[0:1], exec
	s_and_b64 s[14:15], s[14:15], exec
	s_or_b64 s[6:7], s[6:7], s[0:1]
	s_or_b64 s[10:11], s[10:11], s[14:15]
	v_mov_b32_e32 v3, v4
	s_branch .LBB99_27
.LBB99_30:
	s_or_b64 exec, exec, s[2:3]
	s_branch .LBB99_36
.LBB99_31:
	s_cbranch_execz .LBB99_36
; %bb.32:
	v_mov_b32_e32 v2, 0
	global_load_dword v1, v2, s[4:5] glc
	s_brev_b32 s0, 1
	v_cmp_eq_f32_e32 vcc, 0, v0
	s_mov_b64 s[2:3], 0
                                        ; implicit-def: $sgpr6_sgpr7
                                        ; implicit-def: $sgpr10_sgpr11
	s_waitcnt vmcnt(0)
	v_cmp_eq_u32_e64 s[8:9], s0, v1
	s_branch .LBB99_34
.LBB99_33:                              ;   in Loop: Header=BB99_34 Depth=1
	s_or_b64 exec, exec, s[12:13]
	s_and_b64 s[0:1], exec, s[6:7]
	s_or_b64 s[2:3], s[0:1], s[2:3]
	s_andn2_b64 s[0:1], s[8:9], exec
	s_and_b64 s[8:9], s[10:11], exec
	s_or_b64 s[8:9], s[0:1], s[8:9]
	s_andn2_b64 exec, exec, s[2:3]
	s_cbranch_execz .LBB99_36
.LBB99_34:                              ; =>This Inner Loop Header: Depth=1
	v_cmp_lt_f32_e64 s[0:1], v1, v0
	s_and_b64 s[12:13], vcc, s[8:9]
	s_or_b64 s[0:1], s[0:1], s[12:13]
	s_andn2_b64 s[10:11], s[10:11], exec
	s_or_b64 s[6:7], s[6:7], exec
	s_and_saveexec_b64 s[12:13], s[0:1]
	s_cbranch_execz .LBB99_33
; %bb.35:                               ;   in Loop: Header=BB99_34 Depth=1
	global_atomic_cmpswap v3, v2, v[0:1], s[4:5] glc
	s_andn2_b64 s[10:11], s[10:11], exec
	s_andn2_b64 s[6:7], s[6:7], exec
                                        ; implicit-def: $sgpr8_sgpr9
	s_waitcnt vmcnt(0)
	v_cmp_eq_u32_e64 s[0:1], v3, v1
	v_cndmask_b32_e64 v1, v3, v1, s[0:1]
	v_cmp_class_f32_e64 s[14:15], v1, 32
	s_and_b64 s[0:1], s[0:1], exec
	s_and_b64 s[14:15], s[14:15], exec
	s_or_b64 s[6:7], s[6:7], s[0:1]
	s_or_b64 s[10:11], s[10:11], s[14:15]
	v_mov_b32_e32 v1, v3
	s_branch .LBB99_33
.LBB99_36:
	s_endpgm
	.section	.rodata,"a",@progbits
	.p2align	6, 0x0
	.amdhsa_kernel _ZN9rocsparseL13kernel_nrminfILj256E21rocsparse_complex_numIfEEEvmPKT0_PNS_15floating_traitsIS3_E6data_tEPKS8_
		.amdhsa_group_segment_fixed_size 1024
		.amdhsa_private_segment_fixed_size 0
		.amdhsa_kernarg_size 32
		.amdhsa_user_sgpr_count 6
		.amdhsa_user_sgpr_private_segment_buffer 1
		.amdhsa_user_sgpr_dispatch_ptr 0
		.amdhsa_user_sgpr_queue_ptr 0
		.amdhsa_user_sgpr_kernarg_segment_ptr 1
		.amdhsa_user_sgpr_dispatch_id 0
		.amdhsa_user_sgpr_flat_scratch_init 0
		.amdhsa_user_sgpr_kernarg_preload_length 0
		.amdhsa_user_sgpr_kernarg_preload_offset 0
		.amdhsa_user_sgpr_private_segment_size 0
		.amdhsa_uses_dynamic_stack 0
		.amdhsa_system_sgpr_private_segment_wavefront_offset 0
		.amdhsa_system_sgpr_workgroup_id_x 1
		.amdhsa_system_sgpr_workgroup_id_y 0
		.amdhsa_system_sgpr_workgroup_id_z 0
		.amdhsa_system_sgpr_workgroup_info 0
		.amdhsa_system_vgpr_workitem_id 0
		.amdhsa_next_free_vgpr 8
		.amdhsa_next_free_sgpr 16
		.amdhsa_accum_offset 8
		.amdhsa_reserve_vcc 1
		.amdhsa_reserve_flat_scratch 0
		.amdhsa_float_round_mode_32 0
		.amdhsa_float_round_mode_16_64 0
		.amdhsa_float_denorm_mode_32 3
		.amdhsa_float_denorm_mode_16_64 3
		.amdhsa_dx10_clamp 1
		.amdhsa_ieee_mode 1
		.amdhsa_fp16_overflow 0
		.amdhsa_tg_split 0
		.amdhsa_exception_fp_ieee_invalid_op 0
		.amdhsa_exception_fp_denorm_src 0
		.amdhsa_exception_fp_ieee_div_zero 0
		.amdhsa_exception_fp_ieee_overflow 0
		.amdhsa_exception_fp_ieee_underflow 0
		.amdhsa_exception_fp_ieee_inexact 0
		.amdhsa_exception_int_div_zero 0
	.end_amdhsa_kernel
	.section	.text._ZN9rocsparseL13kernel_nrminfILj256E21rocsparse_complex_numIfEEEvmPKT0_PNS_15floating_traitsIS3_E6data_tEPKS8_,"axG",@progbits,_ZN9rocsparseL13kernel_nrminfILj256E21rocsparse_complex_numIfEEEvmPKT0_PNS_15floating_traitsIS3_E6data_tEPKS8_,comdat
.Lfunc_end99:
	.size	_ZN9rocsparseL13kernel_nrminfILj256E21rocsparse_complex_numIfEEEvmPKT0_PNS_15floating_traitsIS3_E6data_tEPKS8_, .Lfunc_end99-_ZN9rocsparseL13kernel_nrminfILj256E21rocsparse_complex_numIfEEEvmPKT0_PNS_15floating_traitsIS3_E6data_tEPKS8_
                                        ; -- End function
	.section	.AMDGPU.csdata,"",@progbits
; Kernel info:
; codeLenInByte = 1480
; NumSgprs: 20
; NumVgprs: 8
; NumAgprs: 0
; TotalNumVgprs: 8
; ScratchSize: 0
; MemoryBound: 0
; FloatMode: 240
; IeeeMode: 1
; LDSByteSize: 1024 bytes/workgroup (compile time only)
; SGPRBlocks: 2
; VGPRBlocks: 0
; NumSGPRsForWavesPerEU: 20
; NumVGPRsForWavesPerEU: 8
; AccumOffset: 8
; Occupancy: 8
; WaveLimiterHint : 0
; COMPUTE_PGM_RSRC2:SCRATCH_EN: 0
; COMPUTE_PGM_RSRC2:USER_SGPR: 6
; COMPUTE_PGM_RSRC2:TRAP_HANDLER: 0
; COMPUTE_PGM_RSRC2:TGID_X_EN: 1
; COMPUTE_PGM_RSRC2:TGID_Y_EN: 0
; COMPUTE_PGM_RSRC2:TGID_Z_EN: 0
; COMPUTE_PGM_RSRC2:TIDIG_COMP_CNT: 0
; COMPUTE_PGM_RSRC3_GFX90A:ACCUM_OFFSET: 1
; COMPUTE_PGM_RSRC3_GFX90A:TG_SPLIT: 0
	.section	.text._ZN9rocsparseL18kernel_nrminf_diffILj256E21rocsparse_complex_numIdEEEvmPKT0_S5_PNS_15floating_traitsIS3_E6data_tEPKS8_,"axG",@progbits,_ZN9rocsparseL18kernel_nrminf_diffILj256E21rocsparse_complex_numIdEEEvmPKT0_S5_PNS_15floating_traitsIS3_E6data_tEPKS8_,comdat
	.globl	_ZN9rocsparseL18kernel_nrminf_diffILj256E21rocsparse_complex_numIdEEEvmPKT0_S5_PNS_15floating_traitsIS3_E6data_tEPKS8_ ; -- Begin function _ZN9rocsparseL18kernel_nrminf_diffILj256E21rocsparse_complex_numIdEEEvmPKT0_S5_PNS_15floating_traitsIS3_E6data_tEPKS8_
	.p2align	8
	.type	_ZN9rocsparseL18kernel_nrminf_diffILj256E21rocsparse_complex_numIdEEEvmPKT0_S5_PNS_15floating_traitsIS3_E6data_tEPKS8_,@function
_ZN9rocsparseL18kernel_nrminf_diffILj256E21rocsparse_complex_numIdEEEvmPKT0_S5_PNS_15floating_traitsIS3_E6data_tEPKS8_: ; @_ZN9rocsparseL18kernel_nrminf_diffILj256E21rocsparse_complex_numIdEEEvmPKT0_S5_PNS_15floating_traitsIS3_E6data_tEPKS8_
; %bb.0:
	s_load_dwordx2 s[0:1], s[4:5], 0x0
	v_mov_b32_e32 v3, 0
	v_lshl_or_b32 v2, s6, 8, v0
	v_pk_mov_b32 v[6:7], 0, 0
	s_waitcnt lgkmcnt(0)
	v_cmp_gt_u64_e32 vcc, s[0:1], v[2:3]
	s_and_saveexec_b64 s[0:1], vcc
	s_cbranch_execz .LBB100_8
; %bb.1:
	s_load_dwordx4 s[8:11], s[4:5], 0x8
	v_lshlrev_b64 v[2:3], 4, v[2:3]
	s_waitcnt lgkmcnt(0)
	v_mov_b32_e32 v1, s9
	v_add_co_u32_e32 v10, vcc, s8, v2
	v_addc_co_u32_e32 v11, vcc, v1, v3, vcc
	v_mov_b32_e32 v1, s11
	v_add_co_u32_e32 v12, vcc, s10, v2
	v_addc_co_u32_e32 v13, vcc, v1, v3, vcc
	global_load_dwordx4 v[2:5], v[12:13], off
	global_load_dwordx4 v[6:9], v[10:11], off
	s_waitcnt vmcnt(0)
	v_add_f64 v[2:3], v[6:7], -v[2:3]
	v_add_f64 v[8:9], v[8:9], -v[4:5]
	v_xor_b32_e32 v1, 0x80000000, v3
	v_cmp_gt_f64_e32 vcc, 0, v[2:3]
	v_xor_b32_e32 v4, 0x80000000, v9
	v_cndmask_b32_e32 v3, v3, v1, vcc
	v_cndmask_b32_e32 v2, v2, v2, vcc
	v_cmp_gt_f64_e32 vcc, 0, v[8:9]
	v_cndmask_b32_e32 v5, v9, v4, vcc
	v_cndmask_b32_e32 v4, v8, v8, vcc
	v_cmp_ngt_f64_e32 vcc, v[2:3], v[4:5]
                                        ; implicit-def: $vgpr6_vgpr7
	s_and_saveexec_b64 s[2:3], vcc
	s_xor_b64 s[2:3], exec, s[2:3]
	s_cbranch_execz .LBB100_5
; %bb.2:
	v_cmp_neq_f64_e32 vcc, 0, v[8:9]
	v_pk_mov_b32 v[6:7], 0, 0
	s_and_saveexec_b64 s[6:7], vcc
	s_cbranch_execz .LBB100_4
; %bb.3:
	v_div_scale_f64 v[6:7], s[8:9], v[4:5], v[4:5], v[2:3]
	v_rcp_f64_e32 v[8:9], v[6:7]
	v_div_scale_f64 v[10:11], vcc, v[2:3], v[4:5], v[2:3]
	s_mov_b32 s8, 0
	v_fma_f64 v[12:13], -v[6:7], v[8:9], 1.0
	v_fmac_f64_e32 v[8:9], v[8:9], v[12:13]
	v_fma_f64 v[12:13], -v[6:7], v[8:9], 1.0
	v_fmac_f64_e32 v[8:9], v[8:9], v[12:13]
	v_mul_f64 v[12:13], v[10:11], v[8:9]
	v_fma_f64 v[6:7], -v[6:7], v[12:13], v[10:11]
	v_div_fmas_f64 v[6:7], v[6:7], v[8:9], v[12:13]
	v_div_fixup_f64 v[2:3], v[6:7], v[4:5], v[2:3]
	v_fma_f64 v[2:3], v[2:3], v[2:3], 1.0
	s_brev_b32 s9, 8
	v_cmp_gt_f64_e32 vcc, s[8:9], v[2:3]
	v_cndmask_b32_e64 v1, 0, 1, vcc
	v_lshlrev_b32_e32 v1, 8, v1
	v_ldexp_f64 v[2:3], v[2:3], v1
	v_rsq_f64_e32 v[6:7], v[2:3]
	v_mov_b32_e32 v1, 0xffffff80
	v_cndmask_b32_e32 v1, 0, v1, vcc
	v_mul_f64 v[8:9], v[2:3], v[6:7]
	v_mul_f64 v[6:7], v[6:7], 0.5
	v_fma_f64 v[10:11], -v[6:7], v[8:9], 0.5
	v_fmac_f64_e32 v[8:9], v[8:9], v[10:11]
	v_fma_f64 v[12:13], -v[8:9], v[8:9], v[2:3]
	v_fmac_f64_e32 v[6:7], v[6:7], v[10:11]
	v_fmac_f64_e32 v[8:9], v[12:13], v[6:7]
	v_fma_f64 v[10:11], -v[8:9], v[8:9], v[2:3]
	v_fmac_f64_e32 v[8:9], v[10:11], v[6:7]
	v_ldexp_f64 v[6:7], v[8:9], v1
	v_mov_b32_e32 v1, 0x260
	v_cmp_class_f64_e32 vcc, v[2:3], v1
	v_cndmask_b32_e32 v3, v7, v3, vcc
	v_cndmask_b32_e32 v2, v6, v2, vcc
	v_mul_f64 v[6:7], v[4:5], v[2:3]
.LBB100_4:
	s_or_b64 exec, exec, s[6:7]
                                        ; implicit-def: $vgpr2_vgpr3
                                        ; implicit-def: $vgpr4_vgpr5
.LBB100_5:
	s_andn2_saveexec_b64 s[2:3], s[2:3]
	s_cbranch_execz .LBB100_7
; %bb.6:
	v_div_scale_f64 v[6:7], s[6:7], v[2:3], v[2:3], v[4:5]
	v_rcp_f64_e32 v[8:9], v[6:7]
	v_div_scale_f64 v[10:11], vcc, v[4:5], v[2:3], v[4:5]
	s_mov_b32 s6, 0
	v_fma_f64 v[12:13], -v[6:7], v[8:9], 1.0
	v_fmac_f64_e32 v[8:9], v[8:9], v[12:13]
	v_fma_f64 v[12:13], -v[6:7], v[8:9], 1.0
	v_fmac_f64_e32 v[8:9], v[8:9], v[12:13]
	v_mul_f64 v[12:13], v[10:11], v[8:9]
	v_fma_f64 v[6:7], -v[6:7], v[12:13], v[10:11]
	v_div_fmas_f64 v[6:7], v[6:7], v[8:9], v[12:13]
	v_div_fixup_f64 v[4:5], v[6:7], v[2:3], v[4:5]
	v_fma_f64 v[4:5], v[4:5], v[4:5], 1.0
	s_brev_b32 s7, 8
	v_cmp_gt_f64_e32 vcc, s[6:7], v[4:5]
	v_cndmask_b32_e64 v1, 0, 1, vcc
	v_lshlrev_b32_e32 v1, 8, v1
	v_ldexp_f64 v[4:5], v[4:5], v1
	v_rsq_f64_e32 v[6:7], v[4:5]
	v_mov_b32_e32 v1, 0xffffff80
	v_cndmask_b32_e32 v1, 0, v1, vcc
	v_mul_f64 v[8:9], v[4:5], v[6:7]
	v_mul_f64 v[6:7], v[6:7], 0.5
	v_fma_f64 v[10:11], -v[6:7], v[8:9], 0.5
	v_fmac_f64_e32 v[8:9], v[8:9], v[10:11]
	v_fma_f64 v[12:13], -v[8:9], v[8:9], v[4:5]
	v_fmac_f64_e32 v[6:7], v[6:7], v[10:11]
	v_fmac_f64_e32 v[8:9], v[12:13], v[6:7]
	v_fma_f64 v[10:11], -v[8:9], v[8:9], v[4:5]
	v_fmac_f64_e32 v[8:9], v[10:11], v[6:7]
	v_ldexp_f64 v[6:7], v[8:9], v1
	v_mov_b32_e32 v1, 0x260
	v_cmp_class_f64_e32 vcc, v[4:5], v1
	v_cndmask_b32_e32 v5, v7, v5, vcc
	v_cndmask_b32_e32 v4, v6, v4, vcc
	v_mul_f64 v[6:7], v[2:3], v[4:5]
.LBB100_7:
	s_or_b64 exec, exec, s[2:3]
.LBB100_8:
	s_or_b64 exec, exec, s[0:1]
	s_movk_i32 s0, 0x80
	v_lshlrev_b32_e32 v1, 3, v0
	v_cmp_gt_u32_e32 vcc, s0, v0
	ds_write_b64 v1, v[6:7]
	s_waitcnt lgkmcnt(0)
	s_barrier
	s_and_saveexec_b64 s[0:1], vcc
	s_cbranch_execz .LBB100_10
; %bb.9:
	ds_read2st64_b64 v[2:5], v1 offset1:2
	s_waitcnt lgkmcnt(0)
	v_cmp_lt_f64_e32 vcc, v[2:3], v[4:5]
	v_cndmask_b32_e32 v3, v3, v5, vcc
	v_cndmask_b32_e32 v2, v2, v4, vcc
	ds_write_b64 v1, v[2:3]
.LBB100_10:
	s_or_b64 exec, exec, s[0:1]
	v_cmp_gt_u32_e32 vcc, 64, v0
	s_waitcnt lgkmcnt(0)
	s_barrier
	s_and_saveexec_b64 s[0:1], vcc
	s_cbranch_execz .LBB100_12
; %bb.11:
	ds_read2st64_b64 v[2:5], v1 offset1:1
	s_waitcnt lgkmcnt(0)
	v_cmp_lt_f64_e32 vcc, v[2:3], v[4:5]
	v_cndmask_b32_e32 v3, v3, v5, vcc
	v_cndmask_b32_e32 v2, v2, v4, vcc
	ds_write_b64 v1, v[2:3]
.LBB100_12:
	s_or_b64 exec, exec, s[0:1]
	v_cmp_gt_u32_e32 vcc, 32, v0
	s_waitcnt lgkmcnt(0)
	s_barrier
	s_and_saveexec_b64 s[0:1], vcc
	s_cbranch_execz .LBB100_14
; %bb.13:
	ds_read2_b64 v[2:5], v1 offset1:32
	s_waitcnt lgkmcnt(0)
	v_cmp_lt_f64_e32 vcc, v[2:3], v[4:5]
	v_cndmask_b32_e32 v3, v3, v5, vcc
	v_cndmask_b32_e32 v2, v2, v4, vcc
	ds_write_b64 v1, v[2:3]
.LBB100_14:
	s_or_b64 exec, exec, s[0:1]
	v_cmp_gt_u32_e32 vcc, 16, v0
	s_waitcnt lgkmcnt(0)
	s_barrier
	s_and_saveexec_b64 s[0:1], vcc
	s_cbranch_execz .LBB100_16
; %bb.15:
	ds_read2_b64 v[2:5], v1 offset1:16
	s_waitcnt lgkmcnt(0)
	v_cmp_lt_f64_e32 vcc, v[2:3], v[4:5]
	v_cndmask_b32_e32 v3, v3, v5, vcc
	v_cndmask_b32_e32 v2, v2, v4, vcc
	ds_write_b64 v1, v[2:3]
.LBB100_16:
	;; [unrolled: 14-line block ×5, first 2 shown]
	s_or_b64 exec, exec, s[0:1]
	v_cmp_eq_u32_e32 vcc, 0, v0
	s_waitcnt lgkmcnt(0)
	s_barrier
	s_and_saveexec_b64 s[2:3], vcc
	s_cbranch_execz .LBB100_24
; %bb.23:
	v_mov_b32_e32 v4, 0
	ds_read_b128 v[0:3], v4
	s_waitcnt lgkmcnt(0)
	v_cmp_lt_f64_e64 s[0:1], v[0:1], v[2:3]
	v_cndmask_b32_e64 v1, v1, v3, s[0:1]
	v_cndmask_b32_e64 v0, v0, v2, s[0:1]
	ds_write_b64 v4, v[0:1]
.LBB100_24:
	s_or_b64 exec, exec, s[2:3]
	s_waitcnt lgkmcnt(0)
	s_barrier
	s_and_saveexec_b64 s[0:1], vcc
	s_cbranch_execz .LBB100_36
; %bb.25:
	s_load_dwordx4 s[4:7], s[4:5], 0x18
	v_mov_b32_e32 v6, 0
	ds_read_b64 v[0:1], v6
	s_mov_b64 s[2:3], 0
	s_waitcnt lgkmcnt(0)
	s_cmp_eq_u64 s[6:7], 0
	s_cbranch_scc1 .LBB100_31
; %bb.26:
	s_load_dwordx2 s[0:1], s[6:7], 0x0
	global_load_dwordx2 v[4:5], v6, s[4:5] glc
                                        ; implicit-def: $sgpr8_sgpr9
	s_waitcnt lgkmcnt(0)
	v_div_scale_f64 v[2:3], s[6:7], s[0:1], s[0:1], v[0:1]
	v_rcp_f64_e32 v[8:9], v[2:3]
	v_div_scale_f64 v[10:11], vcc, v[0:1], s[0:1], v[0:1]
	s_mov_b32 s6, 0
	v_fma_f64 v[12:13], -v[2:3], v[8:9], 1.0
	v_fmac_f64_e32 v[8:9], v[8:9], v[12:13]
	v_fma_f64 v[12:13], -v[2:3], v[8:9], 1.0
	v_fmac_f64_e32 v[8:9], v[8:9], v[12:13]
	v_mul_f64 v[12:13], v[10:11], v[8:9]
	v_fma_f64 v[2:3], -v[2:3], v[12:13], v[10:11]
	v_div_fmas_f64 v[2:3], v[2:3], v[8:9], v[12:13]
	s_brev_b32 s7, 1
	v_div_fixup_f64 v[2:3], v[2:3], s[0:1], v[0:1]
	v_cmp_eq_f64_e32 vcc, 0, v[2:3]
	s_waitcnt vmcnt(0)
	v_cmp_eq_u64_e64 s[10:11], s[6:7], v[4:5]
                                        ; implicit-def: $sgpr6_sgpr7
	s_branch .LBB100_28
.LBB100_27:                             ;   in Loop: Header=BB100_28 Depth=1
	s_or_b64 exec, exec, s[12:13]
	s_and_b64 s[0:1], exec, s[6:7]
	s_or_b64 s[2:3], s[0:1], s[2:3]
	s_andn2_b64 s[0:1], s[10:11], exec
	s_and_b64 s[10:11], s[8:9], exec
	s_or_b64 s[10:11], s[0:1], s[10:11]
	s_andn2_b64 exec, exec, s[2:3]
	s_cbranch_execz .LBB100_30
.LBB100_28:                             ; =>This Inner Loop Header: Depth=1
	v_cmp_lt_f64_e64 s[0:1], v[4:5], v[2:3]
	s_and_b64 s[12:13], vcc, s[10:11]
	s_or_b64 s[0:1], s[0:1], s[12:13]
	s_andn2_b64 s[8:9], s[8:9], exec
	s_or_b64 s[6:7], s[6:7], exec
	s_and_saveexec_b64 s[12:13], s[0:1]
	s_cbranch_execz .LBB100_27
; %bb.29:                               ;   in Loop: Header=BB100_28 Depth=1
	global_atomic_cmpswap_x2 v[8:9], v6, v[2:5], s[4:5] glc
	s_andn2_b64 s[6:7], s[6:7], exec
	s_andn2_b64 s[8:9], s[8:9], exec
                                        ; implicit-def: $sgpr10_sgpr11
	s_waitcnt vmcnt(0)
	v_cmp_eq_u64_e64 s[0:1], v[8:9], v[4:5]
	v_cndmask_b32_e64 v5, v9, v5, s[0:1]
	v_cndmask_b32_e64 v4, v8, v4, s[0:1]
	s_and_b64 s[0:1], s[0:1], exec
	v_cmp_class_f64_e64 s[14:15], v[4:5], 32
	s_or_b64 s[6:7], s[6:7], s[0:1]
	s_and_b64 s[0:1], s[14:15], exec
	s_or_b64 s[8:9], s[8:9], s[0:1]
	v_pk_mov_b32 v[4:5], v[8:9], v[8:9] op_sel:[0,1]
	s_branch .LBB100_27
.LBB100_30:
	s_or_b64 exec, exec, s[2:3]
	s_branch .LBB100_36
.LBB100_31:
	s_cbranch_execz .LBB100_36
; %bb.32:
	v_mov_b32_e32 v4, 0
	global_load_dwordx2 v[2:3], v4, s[4:5] glc
	s_mov_b32 s0, 0
	s_brev_b32 s1, 1
	s_mov_b64 s[2:3], 0
	v_cmp_eq_f64_e32 vcc, 0, v[0:1]
                                        ; implicit-def: $sgpr6_sgpr7
                                        ; implicit-def: $sgpr8_sgpr9
	s_waitcnt vmcnt(0)
	v_cmp_eq_u64_e64 s[10:11], s[0:1], v[2:3]
	s_branch .LBB100_34
.LBB100_33:                             ;   in Loop: Header=BB100_34 Depth=1
	s_or_b64 exec, exec, s[12:13]
	s_and_b64 s[0:1], exec, s[6:7]
	s_or_b64 s[2:3], s[0:1], s[2:3]
	s_andn2_b64 s[0:1], s[10:11], exec
	s_and_b64 s[10:11], s[8:9], exec
	s_or_b64 s[10:11], s[0:1], s[10:11]
	s_andn2_b64 exec, exec, s[2:3]
	s_cbranch_execz .LBB100_36
.LBB100_34:                             ; =>This Inner Loop Header: Depth=1
	v_cmp_lt_f64_e64 s[0:1], v[2:3], v[0:1]
	s_and_b64 s[12:13], vcc, s[10:11]
	s_or_b64 s[0:1], s[0:1], s[12:13]
	s_andn2_b64 s[8:9], s[8:9], exec
	s_or_b64 s[6:7], s[6:7], exec
	s_and_saveexec_b64 s[12:13], s[0:1]
	s_cbranch_execz .LBB100_33
; %bb.35:                               ;   in Loop: Header=BB100_34 Depth=1
	global_atomic_cmpswap_x2 v[6:7], v4, v[0:3], s[4:5] glc
	s_andn2_b64 s[6:7], s[6:7], exec
	s_andn2_b64 s[8:9], s[8:9], exec
                                        ; implicit-def: $sgpr10_sgpr11
	s_waitcnt vmcnt(0)
	v_cmp_eq_u64_e64 s[0:1], v[6:7], v[2:3]
	v_cndmask_b32_e64 v3, v7, v3, s[0:1]
	v_cndmask_b32_e64 v2, v6, v2, s[0:1]
	s_and_b64 s[0:1], s[0:1], exec
	v_cmp_class_f64_e64 s[14:15], v[2:3], 32
	s_or_b64 s[6:7], s[6:7], s[0:1]
	s_and_b64 s[0:1], s[14:15], exec
	s_or_b64 s[8:9], s[8:9], s[0:1]
	v_pk_mov_b32 v[2:3], v[6:7], v[6:7] op_sel:[0,1]
	s_branch .LBB100_33
.LBB100_36:
	s_endpgm
	.section	.rodata,"a",@progbits
	.p2align	6, 0x0
	.amdhsa_kernel _ZN9rocsparseL18kernel_nrminf_diffILj256E21rocsparse_complex_numIdEEEvmPKT0_S5_PNS_15floating_traitsIS3_E6data_tEPKS8_
		.amdhsa_group_segment_fixed_size 2048
		.amdhsa_private_segment_fixed_size 0
		.amdhsa_kernarg_size 40
		.amdhsa_user_sgpr_count 6
		.amdhsa_user_sgpr_private_segment_buffer 1
		.amdhsa_user_sgpr_dispatch_ptr 0
		.amdhsa_user_sgpr_queue_ptr 0
		.amdhsa_user_sgpr_kernarg_segment_ptr 1
		.amdhsa_user_sgpr_dispatch_id 0
		.amdhsa_user_sgpr_flat_scratch_init 0
		.amdhsa_user_sgpr_kernarg_preload_length 0
		.amdhsa_user_sgpr_kernarg_preload_offset 0
		.amdhsa_user_sgpr_private_segment_size 0
		.amdhsa_uses_dynamic_stack 0
		.amdhsa_system_sgpr_private_segment_wavefront_offset 0
		.amdhsa_system_sgpr_workgroup_id_x 1
		.amdhsa_system_sgpr_workgroup_id_y 0
		.amdhsa_system_sgpr_workgroup_id_z 0
		.amdhsa_system_sgpr_workgroup_info 0
		.amdhsa_system_vgpr_workitem_id 0
		.amdhsa_next_free_vgpr 14
		.amdhsa_next_free_sgpr 16
		.amdhsa_accum_offset 16
		.amdhsa_reserve_vcc 1
		.amdhsa_reserve_flat_scratch 0
		.amdhsa_float_round_mode_32 0
		.amdhsa_float_round_mode_16_64 0
		.amdhsa_float_denorm_mode_32 3
		.amdhsa_float_denorm_mode_16_64 3
		.amdhsa_dx10_clamp 1
		.amdhsa_ieee_mode 1
		.amdhsa_fp16_overflow 0
		.amdhsa_tg_split 0
		.amdhsa_exception_fp_ieee_invalid_op 0
		.amdhsa_exception_fp_denorm_src 0
		.amdhsa_exception_fp_ieee_div_zero 0
		.amdhsa_exception_fp_ieee_overflow 0
		.amdhsa_exception_fp_ieee_underflow 0
		.amdhsa_exception_fp_ieee_inexact 0
		.amdhsa_exception_int_div_zero 0
	.end_amdhsa_kernel
	.section	.text._ZN9rocsparseL18kernel_nrminf_diffILj256E21rocsparse_complex_numIdEEEvmPKT0_S5_PNS_15floating_traitsIS3_E6data_tEPKS8_,"axG",@progbits,_ZN9rocsparseL18kernel_nrminf_diffILj256E21rocsparse_complex_numIdEEEvmPKT0_S5_PNS_15floating_traitsIS3_E6data_tEPKS8_,comdat
.Lfunc_end100:
	.size	_ZN9rocsparseL18kernel_nrminf_diffILj256E21rocsparse_complex_numIdEEEvmPKT0_S5_PNS_15floating_traitsIS3_E6data_tEPKS8_, .Lfunc_end100-_ZN9rocsparseL18kernel_nrminf_diffILj256E21rocsparse_complex_numIdEEEvmPKT0_S5_PNS_15floating_traitsIS3_E6data_tEPKS8_
                                        ; -- End function
	.section	.AMDGPU.csdata,"",@progbits
; Kernel info:
; codeLenInByte = 1672
; NumSgprs: 20
; NumVgprs: 14
; NumAgprs: 0
; TotalNumVgprs: 14
; ScratchSize: 0
; MemoryBound: 0
; FloatMode: 240
; IeeeMode: 1
; LDSByteSize: 2048 bytes/workgroup (compile time only)
; SGPRBlocks: 2
; VGPRBlocks: 1
; NumSGPRsForWavesPerEU: 20
; NumVGPRsForWavesPerEU: 14
; AccumOffset: 16
; Occupancy: 8
; WaveLimiterHint : 0
; COMPUTE_PGM_RSRC2:SCRATCH_EN: 0
; COMPUTE_PGM_RSRC2:USER_SGPR: 6
; COMPUTE_PGM_RSRC2:TRAP_HANDLER: 0
; COMPUTE_PGM_RSRC2:TGID_X_EN: 1
; COMPUTE_PGM_RSRC2:TGID_Y_EN: 0
; COMPUTE_PGM_RSRC2:TGID_Z_EN: 0
; COMPUTE_PGM_RSRC2:TIDIG_COMP_CNT: 0
; COMPUTE_PGM_RSRC3_GFX90A:ACCUM_OFFSET: 3
; COMPUTE_PGM_RSRC3_GFX90A:TG_SPLIT: 0
	.section	.text._ZN9rocsparseL13kernel_nrminfILj256E21rocsparse_complex_numIdEEEvmPKT0_PNS_15floating_traitsIS3_E6data_tEPKS8_,"axG",@progbits,_ZN9rocsparseL13kernel_nrminfILj256E21rocsparse_complex_numIdEEEvmPKT0_PNS_15floating_traitsIS3_E6data_tEPKS8_,comdat
	.globl	_ZN9rocsparseL13kernel_nrminfILj256E21rocsparse_complex_numIdEEEvmPKT0_PNS_15floating_traitsIS3_E6data_tEPKS8_ ; -- Begin function _ZN9rocsparseL13kernel_nrminfILj256E21rocsparse_complex_numIdEEEvmPKT0_PNS_15floating_traitsIS3_E6data_tEPKS8_
	.p2align	8
	.type	_ZN9rocsparseL13kernel_nrminfILj256E21rocsparse_complex_numIdEEEvmPKT0_PNS_15floating_traitsIS3_E6data_tEPKS8_,@function
_ZN9rocsparseL13kernel_nrminfILj256E21rocsparse_complex_numIdEEEvmPKT0_PNS_15floating_traitsIS3_E6data_tEPKS8_: ; @_ZN9rocsparseL13kernel_nrminfILj256E21rocsparse_complex_numIdEEEvmPKT0_PNS_15floating_traitsIS3_E6data_tEPKS8_
; %bb.0:
	s_load_dwordx2 s[0:1], s[4:5], 0x0
	v_mov_b32_e32 v3, 0
	v_lshl_or_b32 v2, s6, 8, v0
	v_pk_mov_b32 v[8:9], 0, 0
	s_waitcnt lgkmcnt(0)
	v_cmp_gt_u64_e32 vcc, s[0:1], v[2:3]
	s_and_saveexec_b64 s[0:1], vcc
	s_cbranch_execz .LBB101_8
; %bb.1:
	s_load_dwordx2 s[2:3], s[4:5], 0x8
	v_lshlrev_b64 v[2:3], 4, v[2:3]
                                        ; implicit-def: $vgpr8_vgpr9
	s_waitcnt lgkmcnt(0)
	v_mov_b32_e32 v1, s3
	v_add_co_u32_e32 v2, vcc, s2, v2
	v_addc_co_u32_e32 v3, vcc, v1, v3, vcc
	global_load_dwordx4 v[2:5], v[2:3], off
	s_waitcnt vmcnt(0)
	v_xor_b32_e32 v1, 0x80000000, v3
	v_cmp_gt_f64_e32 vcc, 0, v[2:3]
	v_xor_b32_e32 v6, 0x80000000, v5
	v_cndmask_b32_e32 v3, v3, v1, vcc
	v_cmp_gt_f64_e32 vcc, 0, v[4:5]
	v_cndmask_b32_e32 v7, v5, v6, vcc
	v_mov_b32_e32 v6, v4
	v_cmp_ngt_f64_e32 vcc, v[2:3], v[6:7]
	s_and_saveexec_b64 s[2:3], vcc
	s_xor_b64 s[2:3], exec, s[2:3]
	s_cbranch_execz .LBB101_5
; %bb.2:
	v_cmp_neq_f64_e32 vcc, 0, v[4:5]
	v_pk_mov_b32 v[8:9], 0, 0
	s_and_saveexec_b64 s[6:7], vcc
	s_cbranch_execz .LBB101_4
; %bb.3:
	v_div_scale_f64 v[4:5], s[8:9], v[6:7], v[6:7], v[2:3]
	v_rcp_f64_e32 v[8:9], v[4:5]
	v_div_scale_f64 v[10:11], vcc, v[2:3], v[6:7], v[2:3]
	s_mov_b32 s8, 0
	v_fma_f64 v[12:13], -v[4:5], v[8:9], 1.0
	v_fmac_f64_e32 v[8:9], v[8:9], v[12:13]
	v_fma_f64 v[12:13], -v[4:5], v[8:9], 1.0
	v_fmac_f64_e32 v[8:9], v[8:9], v[12:13]
	v_mul_f64 v[12:13], v[10:11], v[8:9]
	v_fma_f64 v[4:5], -v[4:5], v[12:13], v[10:11]
	v_div_fmas_f64 v[4:5], v[4:5], v[8:9], v[12:13]
	v_div_fixup_f64 v[2:3], v[4:5], v[6:7], v[2:3]
	v_fma_f64 v[2:3], v[2:3], v[2:3], 1.0
	s_brev_b32 s9, 8
	v_cmp_gt_f64_e32 vcc, s[8:9], v[2:3]
	v_cndmask_b32_e64 v1, 0, 1, vcc
	v_lshlrev_b32_e32 v1, 8, v1
	v_ldexp_f64 v[2:3], v[2:3], v1
	v_rsq_f64_e32 v[4:5], v[2:3]
	v_mov_b32_e32 v1, 0xffffff80
	v_cndmask_b32_e32 v1, 0, v1, vcc
	v_mul_f64 v[8:9], v[2:3], v[4:5]
	v_mul_f64 v[4:5], v[4:5], 0.5
	v_fma_f64 v[10:11], -v[4:5], v[8:9], 0.5
	v_fmac_f64_e32 v[8:9], v[8:9], v[10:11]
	v_fma_f64 v[12:13], -v[8:9], v[8:9], v[2:3]
	v_fmac_f64_e32 v[4:5], v[4:5], v[10:11]
	v_fmac_f64_e32 v[8:9], v[12:13], v[4:5]
	v_fma_f64 v[10:11], -v[8:9], v[8:9], v[2:3]
	v_fmac_f64_e32 v[8:9], v[10:11], v[4:5]
	v_ldexp_f64 v[4:5], v[8:9], v1
	v_mov_b32_e32 v1, 0x260
	v_cmp_class_f64_e32 vcc, v[2:3], v1
	v_cndmask_b32_e32 v3, v5, v3, vcc
	v_cndmask_b32_e32 v2, v4, v2, vcc
	v_mul_f64 v[8:9], v[6:7], v[2:3]
.LBB101_4:
	s_or_b64 exec, exec, s[6:7]
                                        ; implicit-def: $vgpr2_vgpr3
                                        ; implicit-def: $vgpr6_vgpr7
.LBB101_5:
	s_andn2_saveexec_b64 s[2:3], s[2:3]
	s_cbranch_execz .LBB101_7
; %bb.6:
	v_div_scale_f64 v[4:5], s[6:7], v[2:3], v[2:3], v[6:7]
	v_rcp_f64_e32 v[8:9], v[4:5]
	v_div_scale_f64 v[10:11], vcc, v[6:7], v[2:3], v[6:7]
	s_mov_b32 s6, 0
	v_fma_f64 v[12:13], -v[4:5], v[8:9], 1.0
	v_fmac_f64_e32 v[8:9], v[8:9], v[12:13]
	v_fma_f64 v[12:13], -v[4:5], v[8:9], 1.0
	v_fmac_f64_e32 v[8:9], v[8:9], v[12:13]
	v_mul_f64 v[12:13], v[10:11], v[8:9]
	v_fma_f64 v[4:5], -v[4:5], v[12:13], v[10:11]
	v_div_fmas_f64 v[4:5], v[4:5], v[8:9], v[12:13]
	v_div_fixup_f64 v[4:5], v[4:5], v[2:3], v[6:7]
	v_fma_f64 v[4:5], v[4:5], v[4:5], 1.0
	s_brev_b32 s7, 8
	v_cmp_gt_f64_e32 vcc, s[6:7], v[4:5]
	v_cndmask_b32_e64 v1, 0, 1, vcc
	v_lshlrev_b32_e32 v1, 8, v1
	v_ldexp_f64 v[4:5], v[4:5], v1
	v_rsq_f64_e32 v[6:7], v[4:5]
	v_mov_b32_e32 v1, 0xffffff80
	v_cndmask_b32_e32 v1, 0, v1, vcc
	v_mul_f64 v[8:9], v[4:5], v[6:7]
	v_mul_f64 v[6:7], v[6:7], 0.5
	v_fma_f64 v[10:11], -v[6:7], v[8:9], 0.5
	v_fmac_f64_e32 v[8:9], v[8:9], v[10:11]
	v_fma_f64 v[12:13], -v[8:9], v[8:9], v[4:5]
	v_fmac_f64_e32 v[6:7], v[6:7], v[10:11]
	v_fmac_f64_e32 v[8:9], v[12:13], v[6:7]
	v_fma_f64 v[10:11], -v[8:9], v[8:9], v[4:5]
	v_fmac_f64_e32 v[8:9], v[10:11], v[6:7]
	v_ldexp_f64 v[6:7], v[8:9], v1
	v_mov_b32_e32 v1, 0x260
	v_cmp_class_f64_e32 vcc, v[4:5], v1
	v_cndmask_b32_e32 v5, v7, v5, vcc
	v_cndmask_b32_e32 v4, v6, v4, vcc
	v_mul_f64 v[8:9], v[2:3], v[4:5]
.LBB101_7:
	s_or_b64 exec, exec, s[2:3]
.LBB101_8:
	s_or_b64 exec, exec, s[0:1]
	s_movk_i32 s0, 0x80
	v_lshlrev_b32_e32 v1, 3, v0
	v_cmp_gt_u32_e32 vcc, s0, v0
	ds_write_b64 v1, v[8:9]
	s_waitcnt lgkmcnt(0)
	s_barrier
	s_and_saveexec_b64 s[0:1], vcc
	s_cbranch_execz .LBB101_10
; %bb.9:
	ds_read2st64_b64 v[2:5], v1 offset1:2
	s_waitcnt lgkmcnt(0)
	v_cmp_lt_f64_e32 vcc, v[2:3], v[4:5]
	v_cndmask_b32_e32 v3, v3, v5, vcc
	v_cndmask_b32_e32 v2, v2, v4, vcc
	ds_write_b64 v1, v[2:3]
.LBB101_10:
	s_or_b64 exec, exec, s[0:1]
	v_cmp_gt_u32_e32 vcc, 64, v0
	s_waitcnt lgkmcnt(0)
	s_barrier
	s_and_saveexec_b64 s[0:1], vcc
	s_cbranch_execz .LBB101_12
; %bb.11:
	ds_read2st64_b64 v[2:5], v1 offset1:1
	s_waitcnt lgkmcnt(0)
	v_cmp_lt_f64_e32 vcc, v[2:3], v[4:5]
	v_cndmask_b32_e32 v3, v3, v5, vcc
	v_cndmask_b32_e32 v2, v2, v4, vcc
	ds_write_b64 v1, v[2:3]
.LBB101_12:
	s_or_b64 exec, exec, s[0:1]
	v_cmp_gt_u32_e32 vcc, 32, v0
	s_waitcnt lgkmcnt(0)
	s_barrier
	s_and_saveexec_b64 s[0:1], vcc
	s_cbranch_execz .LBB101_14
; %bb.13:
	ds_read2_b64 v[2:5], v1 offset1:32
	s_waitcnt lgkmcnt(0)
	v_cmp_lt_f64_e32 vcc, v[2:3], v[4:5]
	v_cndmask_b32_e32 v3, v3, v5, vcc
	v_cndmask_b32_e32 v2, v2, v4, vcc
	ds_write_b64 v1, v[2:3]
.LBB101_14:
	s_or_b64 exec, exec, s[0:1]
	v_cmp_gt_u32_e32 vcc, 16, v0
	s_waitcnt lgkmcnt(0)
	s_barrier
	s_and_saveexec_b64 s[0:1], vcc
	s_cbranch_execz .LBB101_16
; %bb.15:
	ds_read2_b64 v[2:5], v1 offset1:16
	s_waitcnt lgkmcnt(0)
	v_cmp_lt_f64_e32 vcc, v[2:3], v[4:5]
	v_cndmask_b32_e32 v3, v3, v5, vcc
	v_cndmask_b32_e32 v2, v2, v4, vcc
	ds_write_b64 v1, v[2:3]
.LBB101_16:
	;; [unrolled: 14-line block ×5, first 2 shown]
	s_or_b64 exec, exec, s[0:1]
	v_cmp_eq_u32_e32 vcc, 0, v0
	s_waitcnt lgkmcnt(0)
	s_barrier
	s_and_saveexec_b64 s[2:3], vcc
	s_cbranch_execz .LBB101_24
; %bb.23:
	v_mov_b32_e32 v4, 0
	ds_read_b128 v[0:3], v4
	s_waitcnt lgkmcnt(0)
	v_cmp_lt_f64_e64 s[0:1], v[0:1], v[2:3]
	v_cndmask_b32_e64 v1, v1, v3, s[0:1]
	v_cndmask_b32_e64 v0, v0, v2, s[0:1]
	ds_write_b64 v4, v[0:1]
.LBB101_24:
	s_or_b64 exec, exec, s[2:3]
	s_waitcnt lgkmcnt(0)
	s_barrier
	s_and_saveexec_b64 s[0:1], vcc
	s_cbranch_execz .LBB101_36
; %bb.25:
	s_load_dwordx4 s[4:7], s[4:5], 0x10
	v_mov_b32_e32 v6, 0
	ds_read_b64 v[0:1], v6
	s_mov_b64 s[2:3], 0
	s_waitcnt lgkmcnt(0)
	s_cmp_eq_u64 s[6:7], 0
	s_cbranch_scc1 .LBB101_31
; %bb.26:
	s_load_dwordx2 s[0:1], s[6:7], 0x0
	global_load_dwordx2 v[4:5], v6, s[4:5] glc
                                        ; implicit-def: $sgpr8_sgpr9
	s_waitcnt lgkmcnt(0)
	v_div_scale_f64 v[2:3], s[6:7], s[0:1], s[0:1], v[0:1]
	v_rcp_f64_e32 v[8:9], v[2:3]
	v_div_scale_f64 v[10:11], vcc, v[0:1], s[0:1], v[0:1]
	s_mov_b32 s6, 0
	v_fma_f64 v[12:13], -v[2:3], v[8:9], 1.0
	v_fmac_f64_e32 v[8:9], v[8:9], v[12:13]
	v_fma_f64 v[12:13], -v[2:3], v[8:9], 1.0
	v_fmac_f64_e32 v[8:9], v[8:9], v[12:13]
	v_mul_f64 v[12:13], v[10:11], v[8:9]
	v_fma_f64 v[2:3], -v[2:3], v[12:13], v[10:11]
	v_div_fmas_f64 v[2:3], v[2:3], v[8:9], v[12:13]
	s_brev_b32 s7, 1
	v_div_fixup_f64 v[2:3], v[2:3], s[0:1], v[0:1]
	v_cmp_eq_f64_e32 vcc, 0, v[2:3]
	s_waitcnt vmcnt(0)
	v_cmp_eq_u64_e64 s[10:11], s[6:7], v[4:5]
                                        ; implicit-def: $sgpr6_sgpr7
	s_branch .LBB101_28
.LBB101_27:                             ;   in Loop: Header=BB101_28 Depth=1
	s_or_b64 exec, exec, s[12:13]
	s_and_b64 s[0:1], exec, s[6:7]
	s_or_b64 s[2:3], s[0:1], s[2:3]
	s_andn2_b64 s[0:1], s[10:11], exec
	s_and_b64 s[10:11], s[8:9], exec
	s_or_b64 s[10:11], s[0:1], s[10:11]
	s_andn2_b64 exec, exec, s[2:3]
	s_cbranch_execz .LBB101_30
.LBB101_28:                             ; =>This Inner Loop Header: Depth=1
	v_cmp_lt_f64_e64 s[0:1], v[4:5], v[2:3]
	s_and_b64 s[12:13], vcc, s[10:11]
	s_or_b64 s[0:1], s[0:1], s[12:13]
	s_andn2_b64 s[8:9], s[8:9], exec
	s_or_b64 s[6:7], s[6:7], exec
	s_and_saveexec_b64 s[12:13], s[0:1]
	s_cbranch_execz .LBB101_27
; %bb.29:                               ;   in Loop: Header=BB101_28 Depth=1
	global_atomic_cmpswap_x2 v[8:9], v6, v[2:5], s[4:5] glc
	s_andn2_b64 s[6:7], s[6:7], exec
	s_andn2_b64 s[8:9], s[8:9], exec
                                        ; implicit-def: $sgpr10_sgpr11
	s_waitcnt vmcnt(0)
	v_cmp_eq_u64_e64 s[0:1], v[8:9], v[4:5]
	v_cndmask_b32_e64 v5, v9, v5, s[0:1]
	v_cndmask_b32_e64 v4, v8, v4, s[0:1]
	s_and_b64 s[0:1], s[0:1], exec
	v_cmp_class_f64_e64 s[14:15], v[4:5], 32
	s_or_b64 s[6:7], s[6:7], s[0:1]
	s_and_b64 s[0:1], s[14:15], exec
	s_or_b64 s[8:9], s[8:9], s[0:1]
	v_pk_mov_b32 v[4:5], v[8:9], v[8:9] op_sel:[0,1]
	s_branch .LBB101_27
.LBB101_30:
	s_or_b64 exec, exec, s[2:3]
	s_branch .LBB101_36
.LBB101_31:
	s_cbranch_execz .LBB101_36
; %bb.32:
	v_mov_b32_e32 v4, 0
	global_load_dwordx2 v[2:3], v4, s[4:5] glc
	s_mov_b32 s0, 0
	s_brev_b32 s1, 1
	s_mov_b64 s[2:3], 0
	v_cmp_eq_f64_e32 vcc, 0, v[0:1]
                                        ; implicit-def: $sgpr6_sgpr7
                                        ; implicit-def: $sgpr8_sgpr9
	s_waitcnt vmcnt(0)
	v_cmp_eq_u64_e64 s[10:11], s[0:1], v[2:3]
	s_branch .LBB101_34
.LBB101_33:                             ;   in Loop: Header=BB101_34 Depth=1
	s_or_b64 exec, exec, s[12:13]
	s_and_b64 s[0:1], exec, s[6:7]
	s_or_b64 s[2:3], s[0:1], s[2:3]
	s_andn2_b64 s[0:1], s[10:11], exec
	s_and_b64 s[10:11], s[8:9], exec
	s_or_b64 s[10:11], s[0:1], s[10:11]
	s_andn2_b64 exec, exec, s[2:3]
	s_cbranch_execz .LBB101_36
.LBB101_34:                             ; =>This Inner Loop Header: Depth=1
	v_cmp_lt_f64_e64 s[0:1], v[2:3], v[0:1]
	s_and_b64 s[12:13], vcc, s[10:11]
	s_or_b64 s[0:1], s[0:1], s[12:13]
	s_andn2_b64 s[8:9], s[8:9], exec
	s_or_b64 s[6:7], s[6:7], exec
	s_and_saveexec_b64 s[12:13], s[0:1]
	s_cbranch_execz .LBB101_33
; %bb.35:                               ;   in Loop: Header=BB101_34 Depth=1
	global_atomic_cmpswap_x2 v[6:7], v4, v[0:3], s[4:5] glc
	s_andn2_b64 s[6:7], s[6:7], exec
	s_andn2_b64 s[8:9], s[8:9], exec
                                        ; implicit-def: $sgpr10_sgpr11
	s_waitcnt vmcnt(0)
	v_cmp_eq_u64_e64 s[0:1], v[6:7], v[2:3]
	v_cndmask_b32_e64 v3, v7, v3, s[0:1]
	v_cndmask_b32_e64 v2, v6, v2, s[0:1]
	s_and_b64 s[0:1], s[0:1], exec
	v_cmp_class_f64_e64 s[14:15], v[2:3], 32
	s_or_b64 s[6:7], s[6:7], s[0:1]
	s_and_b64 s[0:1], s[14:15], exec
	s_or_b64 s[8:9], s[8:9], s[0:1]
	v_pk_mov_b32 v[2:3], v[6:7], v[6:7] op_sel:[0,1]
	s_branch .LBB101_33
.LBB101_36:
	s_endpgm
	.section	.rodata,"a",@progbits
	.p2align	6, 0x0
	.amdhsa_kernel _ZN9rocsparseL13kernel_nrminfILj256E21rocsparse_complex_numIdEEEvmPKT0_PNS_15floating_traitsIS3_E6data_tEPKS8_
		.amdhsa_group_segment_fixed_size 2048
		.amdhsa_private_segment_fixed_size 0
		.amdhsa_kernarg_size 32
		.amdhsa_user_sgpr_count 6
		.amdhsa_user_sgpr_private_segment_buffer 1
		.amdhsa_user_sgpr_dispatch_ptr 0
		.amdhsa_user_sgpr_queue_ptr 0
		.amdhsa_user_sgpr_kernarg_segment_ptr 1
		.amdhsa_user_sgpr_dispatch_id 0
		.amdhsa_user_sgpr_flat_scratch_init 0
		.amdhsa_user_sgpr_kernarg_preload_length 0
		.amdhsa_user_sgpr_kernarg_preload_offset 0
		.amdhsa_user_sgpr_private_segment_size 0
		.amdhsa_uses_dynamic_stack 0
		.amdhsa_system_sgpr_private_segment_wavefront_offset 0
		.amdhsa_system_sgpr_workgroup_id_x 1
		.amdhsa_system_sgpr_workgroup_id_y 0
		.amdhsa_system_sgpr_workgroup_id_z 0
		.amdhsa_system_sgpr_workgroup_info 0
		.amdhsa_system_vgpr_workitem_id 0
		.amdhsa_next_free_vgpr 14
		.amdhsa_next_free_sgpr 16
		.amdhsa_accum_offset 16
		.amdhsa_reserve_vcc 1
		.amdhsa_reserve_flat_scratch 0
		.amdhsa_float_round_mode_32 0
		.amdhsa_float_round_mode_16_64 0
		.amdhsa_float_denorm_mode_32 3
		.amdhsa_float_denorm_mode_16_64 3
		.amdhsa_dx10_clamp 1
		.amdhsa_ieee_mode 1
		.amdhsa_fp16_overflow 0
		.amdhsa_tg_split 0
		.amdhsa_exception_fp_ieee_invalid_op 0
		.amdhsa_exception_fp_denorm_src 0
		.amdhsa_exception_fp_ieee_div_zero 0
		.amdhsa_exception_fp_ieee_overflow 0
		.amdhsa_exception_fp_ieee_underflow 0
		.amdhsa_exception_fp_ieee_inexact 0
		.amdhsa_exception_int_div_zero 0
	.end_amdhsa_kernel
	.section	.text._ZN9rocsparseL13kernel_nrminfILj256E21rocsparse_complex_numIdEEEvmPKT0_PNS_15floating_traitsIS3_E6data_tEPKS8_,"axG",@progbits,_ZN9rocsparseL13kernel_nrminfILj256E21rocsparse_complex_numIdEEEvmPKT0_PNS_15floating_traitsIS3_E6data_tEPKS8_,comdat
.Lfunc_end101:
	.size	_ZN9rocsparseL13kernel_nrminfILj256E21rocsparse_complex_numIdEEEvmPKT0_PNS_15floating_traitsIS3_E6data_tEPKS8_, .Lfunc_end101-_ZN9rocsparseL13kernel_nrminfILj256E21rocsparse_complex_numIdEEEvmPKT0_PNS_15floating_traitsIS3_E6data_tEPKS8_
                                        ; -- End function
	.section	.AMDGPU.csdata,"",@progbits
; Kernel info:
; codeLenInByte = 1632
; NumSgprs: 20
; NumVgprs: 14
; NumAgprs: 0
; TotalNumVgprs: 14
; ScratchSize: 0
; MemoryBound: 0
; FloatMode: 240
; IeeeMode: 1
; LDSByteSize: 2048 bytes/workgroup (compile time only)
; SGPRBlocks: 2
; VGPRBlocks: 1
; NumSGPRsForWavesPerEU: 20
; NumVGPRsForWavesPerEU: 14
; AccumOffset: 16
; Occupancy: 8
; WaveLimiterHint : 0
; COMPUTE_PGM_RSRC2:SCRATCH_EN: 0
; COMPUTE_PGM_RSRC2:USER_SGPR: 6
; COMPUTE_PGM_RSRC2:TRAP_HANDLER: 0
; COMPUTE_PGM_RSRC2:TGID_X_EN: 1
; COMPUTE_PGM_RSRC2:TGID_Y_EN: 0
; COMPUTE_PGM_RSRC2:TGID_Z_EN: 0
; COMPUTE_PGM_RSRC2:TIDIG_COMP_CNT: 0
; COMPUTE_PGM_RSRC3_GFX90A:ACCUM_OFFSET: 3
; COMPUTE_PGM_RSRC3_GFX90A:TG_SPLIT: 0
	.text
	.p2alignl 6, 3212836864
	.fill 256, 4, 3212836864
	.type	__hip_cuid_db4cabbd7f8c4337,@object ; @__hip_cuid_db4cabbd7f8c4337
	.section	.bss,"aw",@nobits
	.globl	__hip_cuid_db4cabbd7f8c4337
__hip_cuid_db4cabbd7f8c4337:
	.byte	0                               ; 0x0
	.size	__hip_cuid_db4cabbd7f8c4337, 1

	.ident	"AMD clang version 19.0.0git (https://github.com/RadeonOpenCompute/llvm-project roc-6.4.0 25133 c7fe45cf4b819c5991fe208aaa96edf142730f1d)"
	.section	".note.GNU-stack","",@progbits
	.addrsig
	.addrsig_sym __hip_cuid_db4cabbd7f8c4337
	.amdgpu_metadata
---
amdhsa.kernels:
  - .agpr_count:     0
    .args:
      - .offset:         0
        .size:           4
        .value_kind:     by_value
      - .address_space:  global
        .offset:         8
        .size:           8
        .value_kind:     global_buffer
      - .offset:         16
        .size:           4
        .value_kind:     hidden_block_count_x
      - .offset:         20
        .size:           4
        .value_kind:     hidden_block_count_y
      - .offset:         24
        .size:           4
        .value_kind:     hidden_block_count_z
      - .offset:         28
        .size:           2
        .value_kind:     hidden_group_size_x
      - .offset:         30
        .size:           2
        .value_kind:     hidden_group_size_y
      - .offset:         32
        .size:           2
        .value_kind:     hidden_group_size_z
      - .offset:         34
        .size:           2
        .value_kind:     hidden_remainder_x
      - .offset:         36
        .size:           2
        .value_kind:     hidden_remainder_y
      - .offset:         38
        .size:           2
        .value_kind:     hidden_remainder_z
      - .offset:         56
        .size:           8
        .value_kind:     hidden_global_offset_x
      - .offset:         64
        .size:           8
        .value_kind:     hidden_global_offset_y
      - .offset:         72
        .size:           8
        .value_kind:     hidden_global_offset_z
      - .offset:         80
        .size:           2
        .value_kind:     hidden_grid_dims
    .group_segment_fixed_size: 0
    .kernarg_segment_align: 8
    .kernarg_segment_size: 272
    .language:       OpenCL C
    .language_version:
      - 2
      - 0
    .max_flat_workgroup_size: 1024
    .name:           _ZN9rocsparseL25kernel_set_identity_arrayILj1024EiiEEvT1_PT0_
    .private_segment_fixed_size: 0
    .sgpr_count:     11
    .sgpr_spill_count: 0
    .symbol:         _ZN9rocsparseL25kernel_set_identity_arrayILj1024EiiEEvT1_PT0_.kd
    .uniform_work_group_size: 1
    .uses_dynamic_stack: false
    .vgpr_count:     3
    .vgpr_spill_count: 0
    .wavefront_size: 64
  - .agpr_count:     0
    .args:
      - .offset:         0
        .size:           4
        .value_kind:     by_value
      - .address_space:  global
        .offset:         8
        .size:           8
        .value_kind:     global_buffer
      - .address_space:  global
        .offset:         16
        .size:           8
        .value_kind:     global_buffer
      - .address_space:  global
        .offset:         24
        .size:           8
        .value_kind:     global_buffer
      - .offset:         32
        .size:           4
        .value_kind:     hidden_block_count_x
      - .offset:         36
        .size:           4
        .value_kind:     hidden_block_count_y
      - .offset:         40
        .size:           4
        .value_kind:     hidden_block_count_z
      - .offset:         44
        .size:           2
        .value_kind:     hidden_group_size_x
      - .offset:         46
        .size:           2
        .value_kind:     hidden_group_size_y
      - .offset:         48
        .size:           2
        .value_kind:     hidden_group_size_z
      - .offset:         50
        .size:           2
        .value_kind:     hidden_remainder_x
      - .offset:         52
        .size:           2
        .value_kind:     hidden_remainder_y
      - .offset:         54
        .size:           2
        .value_kind:     hidden_remainder_z
      - .offset:         72
        .size:           8
        .value_kind:     hidden_global_offset_x
      - .offset:         80
        .size:           8
        .value_kind:     hidden_global_offset_y
      - .offset:         88
        .size:           8
        .value_kind:     hidden_global_offset_z
      - .offset:         96
        .size:           2
        .value_kind:     hidden_grid_dims
    .group_segment_fixed_size: 0
    .kernarg_segment_align: 8
    .kernarg_segment_size: 288
    .language:       OpenCL C
    .language_version:
      - 2
      - 0
    .max_flat_workgroup_size: 1024
    .name:           _ZN9rocsparseL25kernel_get_permuted_arrayILj1024EiiEEvT1_PKT0_PS2_PKS1_
    .private_segment_fixed_size: 0
    .sgpr_count:     11
    .sgpr_spill_count: 0
    .symbol:         _ZN9rocsparseL25kernel_get_permuted_arrayILj1024EiiEEvT1_PKT0_PS2_PKS1_.kd
    .uniform_work_group_size: 1
    .uses_dynamic_stack: false
    .vgpr_count:     5
    .vgpr_spill_count: 0
    .wavefront_size: 64
  - .agpr_count:     0
    .args:
      - .offset:         0
        .size:           4
        .value_kind:     by_value
      - .address_space:  global
        .offset:         8
        .size:           8
        .value_kind:     global_buffer
      - .address_space:  global
        .offset:         16
        .size:           8
        .value_kind:     global_buffer
      - .address_space:  global
        .offset:         24
        .size:           8
        .value_kind:     global_buffer
      - .offset:         32
        .size:           4
        .value_kind:     hidden_block_count_x
      - .offset:         36
        .size:           4
        .value_kind:     hidden_block_count_y
      - .offset:         40
        .size:           4
        .value_kind:     hidden_block_count_z
      - .offset:         44
        .size:           2
        .value_kind:     hidden_group_size_x
      - .offset:         46
        .size:           2
        .value_kind:     hidden_group_size_y
      - .offset:         48
        .size:           2
        .value_kind:     hidden_group_size_z
      - .offset:         50
        .size:           2
        .value_kind:     hidden_remainder_x
      - .offset:         52
        .size:           2
        .value_kind:     hidden_remainder_y
      - .offset:         54
        .size:           2
        .value_kind:     hidden_remainder_z
      - .offset:         72
        .size:           8
        .value_kind:     hidden_global_offset_x
      - .offset:         80
        .size:           8
        .value_kind:     hidden_global_offset_y
      - .offset:         88
        .size:           8
        .value_kind:     hidden_global_offset_z
      - .offset:         96
        .size:           2
        .value_kind:     hidden_grid_dims
    .group_segment_fixed_size: 0
    .kernarg_segment_align: 8
    .kernarg_segment_size: 288
    .language:       OpenCL C
    .language_version:
      - 2
      - 0
    .max_flat_workgroup_size: 1024
    .name:           _ZN9rocsparseL25kernel_set_permuted_arrayILj1024EiiEEvT1_PT0_PKS2_PKS1_
    .private_segment_fixed_size: 0
    .sgpr_count:     12
    .sgpr_spill_count: 0
    .symbol:         _ZN9rocsparseL25kernel_set_permuted_arrayILj1024EiiEEvT1_PT0_PKS2_PKS1_.kd
    .uniform_work_group_size: 1
    .uses_dynamic_stack: false
    .vgpr_count:     6
    .vgpr_spill_count: 0
    .wavefront_size: 64
  - .agpr_count:     0
    .args:
      - .offset:         0
        .size:           4
        .value_kind:     by_value
      - .address_space:  global
        .offset:         8
        .size:           8
        .value_kind:     global_buffer
      - .offset:         16
        .size:           4
        .value_kind:     hidden_block_count_x
      - .offset:         20
        .size:           4
        .value_kind:     hidden_block_count_y
      - .offset:         24
        .size:           4
        .value_kind:     hidden_block_count_z
      - .offset:         28
        .size:           2
        .value_kind:     hidden_group_size_x
      - .offset:         30
        .size:           2
        .value_kind:     hidden_group_size_y
      - .offset:         32
        .size:           2
        .value_kind:     hidden_group_size_z
      - .offset:         34
        .size:           2
        .value_kind:     hidden_remainder_x
      - .offset:         36
        .size:           2
        .value_kind:     hidden_remainder_y
      - .offset:         38
        .size:           2
        .value_kind:     hidden_remainder_z
      - .offset:         56
        .size:           8
        .value_kind:     hidden_global_offset_x
      - .offset:         64
        .size:           8
        .value_kind:     hidden_global_offset_y
      - .offset:         72
        .size:           8
        .value_kind:     hidden_global_offset_z
      - .offset:         80
        .size:           2
        .value_kind:     hidden_grid_dims
    .group_segment_fixed_size: 0
    .kernarg_segment_align: 8
    .kernarg_segment_size: 272
    .language:       OpenCL C
    .language_version:
      - 2
      - 0
    .max_flat_workgroup_size: 1024
    .name:           _ZN9rocsparseL25kernel_set_identity_arrayILj1024EfiEEvT1_PT0_
    .private_segment_fixed_size: 0
    .sgpr_count:     11
    .sgpr_spill_count: 0
    .symbol:         _ZN9rocsparseL25kernel_set_identity_arrayILj1024EfiEEvT1_PT0_.kd
    .uniform_work_group_size: 1
    .uses_dynamic_stack: false
    .vgpr_count:     3
    .vgpr_spill_count: 0
    .wavefront_size: 64
  - .agpr_count:     0
    .args:
      - .offset:         0
        .size:           4
        .value_kind:     by_value
      - .address_space:  global
        .offset:         8
        .size:           8
        .value_kind:     global_buffer
      - .address_space:  global
        .offset:         16
        .size:           8
        .value_kind:     global_buffer
      - .address_space:  global
        .offset:         24
        .size:           8
        .value_kind:     global_buffer
      - .offset:         32
        .size:           4
        .value_kind:     hidden_block_count_x
      - .offset:         36
        .size:           4
        .value_kind:     hidden_block_count_y
      - .offset:         40
        .size:           4
        .value_kind:     hidden_block_count_z
      - .offset:         44
        .size:           2
        .value_kind:     hidden_group_size_x
      - .offset:         46
        .size:           2
        .value_kind:     hidden_group_size_y
      - .offset:         48
        .size:           2
        .value_kind:     hidden_group_size_z
      - .offset:         50
        .size:           2
        .value_kind:     hidden_remainder_x
      - .offset:         52
        .size:           2
        .value_kind:     hidden_remainder_y
      - .offset:         54
        .size:           2
        .value_kind:     hidden_remainder_z
      - .offset:         72
        .size:           8
        .value_kind:     hidden_global_offset_x
      - .offset:         80
        .size:           8
        .value_kind:     hidden_global_offset_y
      - .offset:         88
        .size:           8
        .value_kind:     hidden_global_offset_z
      - .offset:         96
        .size:           2
        .value_kind:     hidden_grid_dims
    .group_segment_fixed_size: 0
    .kernarg_segment_align: 8
    .kernarg_segment_size: 288
    .language:       OpenCL C
    .language_version:
      - 2
      - 0
    .max_flat_workgroup_size: 1024
    .name:           _ZN9rocsparseL25kernel_get_permuted_arrayILj1024EfiEEvT1_PKT0_PS2_PKS1_
    .private_segment_fixed_size: 0
    .sgpr_count:     11
    .sgpr_spill_count: 0
    .symbol:         _ZN9rocsparseL25kernel_get_permuted_arrayILj1024EfiEEvT1_PKT0_PS2_PKS1_.kd
    .uniform_work_group_size: 1
    .uses_dynamic_stack: false
    .vgpr_count:     5
    .vgpr_spill_count: 0
    .wavefront_size: 64
  - .agpr_count:     0
    .args:
      - .offset:         0
        .size:           4
        .value_kind:     by_value
      - .address_space:  global
        .offset:         8
        .size:           8
        .value_kind:     global_buffer
      - .address_space:  global
        .offset:         16
        .size:           8
        .value_kind:     global_buffer
      - .address_space:  global
        .offset:         24
        .size:           8
        .value_kind:     global_buffer
      - .offset:         32
        .size:           4
        .value_kind:     hidden_block_count_x
      - .offset:         36
        .size:           4
        .value_kind:     hidden_block_count_y
      - .offset:         40
        .size:           4
        .value_kind:     hidden_block_count_z
      - .offset:         44
        .size:           2
        .value_kind:     hidden_group_size_x
      - .offset:         46
        .size:           2
        .value_kind:     hidden_group_size_y
      - .offset:         48
        .size:           2
        .value_kind:     hidden_group_size_z
      - .offset:         50
        .size:           2
        .value_kind:     hidden_remainder_x
      - .offset:         52
        .size:           2
        .value_kind:     hidden_remainder_y
      - .offset:         54
        .size:           2
        .value_kind:     hidden_remainder_z
      - .offset:         72
        .size:           8
        .value_kind:     hidden_global_offset_x
      - .offset:         80
        .size:           8
        .value_kind:     hidden_global_offset_y
      - .offset:         88
        .size:           8
        .value_kind:     hidden_global_offset_z
      - .offset:         96
        .size:           2
        .value_kind:     hidden_grid_dims
    .group_segment_fixed_size: 0
    .kernarg_segment_align: 8
    .kernarg_segment_size: 288
    .language:       OpenCL C
    .language_version:
      - 2
      - 0
    .max_flat_workgroup_size: 1024
    .name:           _ZN9rocsparseL25kernel_set_permuted_arrayILj1024EfiEEvT1_PT0_PKS2_PKS1_
    .private_segment_fixed_size: 0
    .sgpr_count:     12
    .sgpr_spill_count: 0
    .symbol:         _ZN9rocsparseL25kernel_set_permuted_arrayILj1024EfiEEvT1_PT0_PKS2_PKS1_.kd
    .uniform_work_group_size: 1
    .uses_dynamic_stack: false
    .vgpr_count:     6
    .vgpr_spill_count: 0
    .wavefront_size: 64
  - .agpr_count:     0
    .args:
      - .offset:         0
        .size:           4
        .value_kind:     by_value
      - .address_space:  global
        .offset:         8
        .size:           8
        .value_kind:     global_buffer
      - .offset:         16
        .size:           4
        .value_kind:     hidden_block_count_x
      - .offset:         20
        .size:           4
        .value_kind:     hidden_block_count_y
      - .offset:         24
        .size:           4
        .value_kind:     hidden_block_count_z
      - .offset:         28
        .size:           2
        .value_kind:     hidden_group_size_x
      - .offset:         30
        .size:           2
        .value_kind:     hidden_group_size_y
      - .offset:         32
        .size:           2
        .value_kind:     hidden_group_size_z
      - .offset:         34
        .size:           2
        .value_kind:     hidden_remainder_x
      - .offset:         36
        .size:           2
        .value_kind:     hidden_remainder_y
      - .offset:         38
        .size:           2
        .value_kind:     hidden_remainder_z
      - .offset:         56
        .size:           8
        .value_kind:     hidden_global_offset_x
      - .offset:         64
        .size:           8
        .value_kind:     hidden_global_offset_y
      - .offset:         72
        .size:           8
        .value_kind:     hidden_global_offset_z
      - .offset:         80
        .size:           2
        .value_kind:     hidden_grid_dims
    .group_segment_fixed_size: 0
    .kernarg_segment_align: 8
    .kernarg_segment_size: 272
    .language:       OpenCL C
    .language_version:
      - 2
      - 0
    .max_flat_workgroup_size: 1024
    .name:           _ZN9rocsparseL25kernel_set_identity_arrayILj1024EdiEEvT1_PT0_
    .private_segment_fixed_size: 0
    .sgpr_count:     11
    .sgpr_spill_count: 0
    .symbol:         _ZN9rocsparseL25kernel_set_identity_arrayILj1024EdiEEvT1_PT0_.kd
    .uniform_work_group_size: 1
    .uses_dynamic_stack: false
    .vgpr_count:     4
    .vgpr_spill_count: 0
    .wavefront_size: 64
  - .agpr_count:     0
    .args:
      - .offset:         0
        .size:           4
        .value_kind:     by_value
      - .address_space:  global
        .offset:         8
        .size:           8
        .value_kind:     global_buffer
      - .address_space:  global
        .offset:         16
        .size:           8
        .value_kind:     global_buffer
      - .address_space:  global
        .offset:         24
        .size:           8
        .value_kind:     global_buffer
      - .offset:         32
        .size:           4
        .value_kind:     hidden_block_count_x
      - .offset:         36
        .size:           4
        .value_kind:     hidden_block_count_y
      - .offset:         40
        .size:           4
        .value_kind:     hidden_block_count_z
      - .offset:         44
        .size:           2
        .value_kind:     hidden_group_size_x
      - .offset:         46
        .size:           2
        .value_kind:     hidden_group_size_y
      - .offset:         48
        .size:           2
        .value_kind:     hidden_group_size_z
      - .offset:         50
        .size:           2
        .value_kind:     hidden_remainder_x
      - .offset:         52
        .size:           2
        .value_kind:     hidden_remainder_y
      - .offset:         54
        .size:           2
        .value_kind:     hidden_remainder_z
      - .offset:         72
        .size:           8
        .value_kind:     hidden_global_offset_x
      - .offset:         80
        .size:           8
        .value_kind:     hidden_global_offset_y
      - .offset:         88
        .size:           8
        .value_kind:     hidden_global_offset_z
      - .offset:         96
        .size:           2
        .value_kind:     hidden_grid_dims
    .group_segment_fixed_size: 0
    .kernarg_segment_align: 8
    .kernarg_segment_size: 288
    .language:       OpenCL C
    .language_version:
      - 2
      - 0
    .max_flat_workgroup_size: 1024
    .name:           _ZN9rocsparseL25kernel_get_permuted_arrayILj1024EdiEEvT1_PKT0_PS2_PKS1_
    .private_segment_fixed_size: 0
    .sgpr_count:     11
    .sgpr_spill_count: 0
    .symbol:         _ZN9rocsparseL25kernel_get_permuted_arrayILj1024EdiEEvT1_PKT0_PS2_PKS1_.kd
    .uniform_work_group_size: 1
    .uses_dynamic_stack: false
    .vgpr_count:     5
    .vgpr_spill_count: 0
    .wavefront_size: 64
  - .agpr_count:     0
    .args:
      - .offset:         0
        .size:           4
        .value_kind:     by_value
      - .address_space:  global
        .offset:         8
        .size:           8
        .value_kind:     global_buffer
      - .address_space:  global
        .offset:         16
        .size:           8
        .value_kind:     global_buffer
      - .address_space:  global
        .offset:         24
        .size:           8
        .value_kind:     global_buffer
      - .offset:         32
        .size:           4
        .value_kind:     hidden_block_count_x
      - .offset:         36
        .size:           4
        .value_kind:     hidden_block_count_y
      - .offset:         40
        .size:           4
        .value_kind:     hidden_block_count_z
      - .offset:         44
        .size:           2
        .value_kind:     hidden_group_size_x
      - .offset:         46
        .size:           2
        .value_kind:     hidden_group_size_y
      - .offset:         48
        .size:           2
        .value_kind:     hidden_group_size_z
      - .offset:         50
        .size:           2
        .value_kind:     hidden_remainder_x
      - .offset:         52
        .size:           2
        .value_kind:     hidden_remainder_y
      - .offset:         54
        .size:           2
        .value_kind:     hidden_remainder_z
      - .offset:         72
        .size:           8
        .value_kind:     hidden_global_offset_x
      - .offset:         80
        .size:           8
        .value_kind:     hidden_global_offset_y
      - .offset:         88
        .size:           8
        .value_kind:     hidden_global_offset_z
      - .offset:         96
        .size:           2
        .value_kind:     hidden_grid_dims
    .group_segment_fixed_size: 0
    .kernarg_segment_align: 8
    .kernarg_segment_size: 288
    .language:       OpenCL C
    .language_version:
      - 2
      - 0
    .max_flat_workgroup_size: 1024
    .name:           _ZN9rocsparseL25kernel_set_permuted_arrayILj1024EdiEEvT1_PT0_PKS2_PKS1_
    .private_segment_fixed_size: 0
    .sgpr_count:     12
    .sgpr_spill_count: 0
    .symbol:         _ZN9rocsparseL25kernel_set_permuted_arrayILj1024EdiEEvT1_PT0_PKS2_PKS1_.kd
    .uniform_work_group_size: 1
    .uses_dynamic_stack: false
    .vgpr_count:     5
    .vgpr_spill_count: 0
    .wavefront_size: 64
  - .agpr_count:     0
    .args:
      - .offset:         0
        .size:           4
        .value_kind:     by_value
      - .address_space:  global
        .offset:         8
        .size:           8
        .value_kind:     global_buffer
      - .offset:         16
        .size:           4
        .value_kind:     hidden_block_count_x
      - .offset:         20
        .size:           4
        .value_kind:     hidden_block_count_y
      - .offset:         24
        .size:           4
        .value_kind:     hidden_block_count_z
      - .offset:         28
        .size:           2
        .value_kind:     hidden_group_size_x
      - .offset:         30
        .size:           2
        .value_kind:     hidden_group_size_y
      - .offset:         32
        .size:           2
        .value_kind:     hidden_group_size_z
      - .offset:         34
        .size:           2
        .value_kind:     hidden_remainder_x
      - .offset:         36
        .size:           2
        .value_kind:     hidden_remainder_y
      - .offset:         38
        .size:           2
        .value_kind:     hidden_remainder_z
      - .offset:         56
        .size:           8
        .value_kind:     hidden_global_offset_x
      - .offset:         64
        .size:           8
        .value_kind:     hidden_global_offset_y
      - .offset:         72
        .size:           8
        .value_kind:     hidden_global_offset_z
      - .offset:         80
        .size:           2
        .value_kind:     hidden_grid_dims
    .group_segment_fixed_size: 0
    .kernarg_segment_align: 8
    .kernarg_segment_size: 272
    .language:       OpenCL C
    .language_version:
      - 2
      - 0
    .max_flat_workgroup_size: 1024
    .name:           _ZN9rocsparseL25kernel_set_identity_arrayILj1024E21rocsparse_complex_numIfEiEEvT1_PT0_
    .private_segment_fixed_size: 0
    .sgpr_count:     11
    .sgpr_spill_count: 0
    .symbol:         _ZN9rocsparseL25kernel_set_identity_arrayILj1024E21rocsparse_complex_numIfEiEEvT1_PT0_.kd
    .uniform_work_group_size: 1
    .uses_dynamic_stack: false
    .vgpr_count:     4
    .vgpr_spill_count: 0
    .wavefront_size: 64
  - .agpr_count:     0
    .args:
      - .offset:         0
        .size:           4
        .value_kind:     by_value
      - .address_space:  global
        .offset:         8
        .size:           8
        .value_kind:     global_buffer
      - .address_space:  global
        .offset:         16
        .size:           8
        .value_kind:     global_buffer
      - .address_space:  global
        .offset:         24
        .size:           8
        .value_kind:     global_buffer
      - .offset:         32
        .size:           4
        .value_kind:     hidden_block_count_x
      - .offset:         36
        .size:           4
        .value_kind:     hidden_block_count_y
      - .offset:         40
        .size:           4
        .value_kind:     hidden_block_count_z
      - .offset:         44
        .size:           2
        .value_kind:     hidden_group_size_x
      - .offset:         46
        .size:           2
        .value_kind:     hidden_group_size_y
      - .offset:         48
        .size:           2
        .value_kind:     hidden_group_size_z
      - .offset:         50
        .size:           2
        .value_kind:     hidden_remainder_x
      - .offset:         52
        .size:           2
        .value_kind:     hidden_remainder_y
      - .offset:         54
        .size:           2
        .value_kind:     hidden_remainder_z
      - .offset:         72
        .size:           8
        .value_kind:     hidden_global_offset_x
      - .offset:         80
        .size:           8
        .value_kind:     hidden_global_offset_y
      - .offset:         88
        .size:           8
        .value_kind:     hidden_global_offset_z
      - .offset:         96
        .size:           2
        .value_kind:     hidden_grid_dims
    .group_segment_fixed_size: 0
    .kernarg_segment_align: 8
    .kernarg_segment_size: 288
    .language:       OpenCL C
    .language_version:
      - 2
      - 0
    .max_flat_workgroup_size: 1024
    .name:           _ZN9rocsparseL25kernel_get_permuted_arrayILj1024E21rocsparse_complex_numIfEiEEvT1_PKT0_PS4_PKS3_
    .private_segment_fixed_size: 0
    .sgpr_count:     11
    .sgpr_spill_count: 0
    .symbol:         _ZN9rocsparseL25kernel_get_permuted_arrayILj1024E21rocsparse_complex_numIfEiEEvT1_PKT0_PS4_PKS3_.kd
    .uniform_work_group_size: 1
    .uses_dynamic_stack: false
    .vgpr_count:     5
    .vgpr_spill_count: 0
    .wavefront_size: 64
  - .agpr_count:     0
    .args:
      - .offset:         0
        .size:           4
        .value_kind:     by_value
      - .address_space:  global
        .offset:         8
        .size:           8
        .value_kind:     global_buffer
      - .address_space:  global
        .offset:         16
        .size:           8
        .value_kind:     global_buffer
      - .address_space:  global
        .offset:         24
        .size:           8
        .value_kind:     global_buffer
      - .offset:         32
        .size:           4
        .value_kind:     hidden_block_count_x
      - .offset:         36
        .size:           4
        .value_kind:     hidden_block_count_y
      - .offset:         40
        .size:           4
        .value_kind:     hidden_block_count_z
      - .offset:         44
        .size:           2
        .value_kind:     hidden_group_size_x
      - .offset:         46
        .size:           2
        .value_kind:     hidden_group_size_y
      - .offset:         48
        .size:           2
        .value_kind:     hidden_group_size_z
      - .offset:         50
        .size:           2
        .value_kind:     hidden_remainder_x
      - .offset:         52
        .size:           2
        .value_kind:     hidden_remainder_y
      - .offset:         54
        .size:           2
        .value_kind:     hidden_remainder_z
      - .offset:         72
        .size:           8
        .value_kind:     hidden_global_offset_x
      - .offset:         80
        .size:           8
        .value_kind:     hidden_global_offset_y
      - .offset:         88
        .size:           8
        .value_kind:     hidden_global_offset_z
      - .offset:         96
        .size:           2
        .value_kind:     hidden_grid_dims
    .group_segment_fixed_size: 0
    .kernarg_segment_align: 8
    .kernarg_segment_size: 288
    .language:       OpenCL C
    .language_version:
      - 2
      - 0
    .max_flat_workgroup_size: 1024
    .name:           _ZN9rocsparseL25kernel_set_permuted_arrayILj1024E21rocsparse_complex_numIfEiEEvT1_PT0_PKS4_PKS3_
    .private_segment_fixed_size: 0
    .sgpr_count:     12
    .sgpr_spill_count: 0
    .symbol:         _ZN9rocsparseL25kernel_set_permuted_arrayILj1024E21rocsparse_complex_numIfEiEEvT1_PT0_PKS4_PKS3_.kd
    .uniform_work_group_size: 1
    .uses_dynamic_stack: false
    .vgpr_count:     5
    .vgpr_spill_count: 0
    .wavefront_size: 64
  - .agpr_count:     0
    .args:
      - .offset:         0
        .size:           4
        .value_kind:     by_value
      - .address_space:  global
        .offset:         8
        .size:           8
        .value_kind:     global_buffer
      - .offset:         16
        .size:           4
        .value_kind:     hidden_block_count_x
      - .offset:         20
        .size:           4
        .value_kind:     hidden_block_count_y
      - .offset:         24
        .size:           4
        .value_kind:     hidden_block_count_z
      - .offset:         28
        .size:           2
        .value_kind:     hidden_group_size_x
      - .offset:         30
        .size:           2
        .value_kind:     hidden_group_size_y
      - .offset:         32
        .size:           2
        .value_kind:     hidden_group_size_z
      - .offset:         34
        .size:           2
        .value_kind:     hidden_remainder_x
      - .offset:         36
        .size:           2
        .value_kind:     hidden_remainder_y
      - .offset:         38
        .size:           2
        .value_kind:     hidden_remainder_z
      - .offset:         56
        .size:           8
        .value_kind:     hidden_global_offset_x
      - .offset:         64
        .size:           8
        .value_kind:     hidden_global_offset_y
      - .offset:         72
        .size:           8
        .value_kind:     hidden_global_offset_z
      - .offset:         80
        .size:           2
        .value_kind:     hidden_grid_dims
    .group_segment_fixed_size: 0
    .kernarg_segment_align: 8
    .kernarg_segment_size: 272
    .language:       OpenCL C
    .language_version:
      - 2
      - 0
    .max_flat_workgroup_size: 1024
    .name:           _ZN9rocsparseL25kernel_set_identity_arrayILj1024E21rocsparse_complex_numIdEiEEvT1_PT0_
    .private_segment_fixed_size: 0
    .sgpr_count:     11
    .sgpr_spill_count: 0
    .symbol:         _ZN9rocsparseL25kernel_set_identity_arrayILj1024E21rocsparse_complex_numIdEiEEvT1_PT0_.kd
    .uniform_work_group_size: 1
    .uses_dynamic_stack: false
    .vgpr_count:     6
    .vgpr_spill_count: 0
    .wavefront_size: 64
  - .agpr_count:     0
    .args:
      - .offset:         0
        .size:           4
        .value_kind:     by_value
      - .address_space:  global
        .offset:         8
        .size:           8
        .value_kind:     global_buffer
      - .address_space:  global
        .offset:         16
        .size:           8
        .value_kind:     global_buffer
      - .address_space:  global
        .offset:         24
        .size:           8
        .value_kind:     global_buffer
      - .offset:         32
        .size:           4
        .value_kind:     hidden_block_count_x
      - .offset:         36
        .size:           4
        .value_kind:     hidden_block_count_y
      - .offset:         40
        .size:           4
        .value_kind:     hidden_block_count_z
      - .offset:         44
        .size:           2
        .value_kind:     hidden_group_size_x
      - .offset:         46
        .size:           2
        .value_kind:     hidden_group_size_y
      - .offset:         48
        .size:           2
        .value_kind:     hidden_group_size_z
      - .offset:         50
        .size:           2
        .value_kind:     hidden_remainder_x
      - .offset:         52
        .size:           2
        .value_kind:     hidden_remainder_y
      - .offset:         54
        .size:           2
        .value_kind:     hidden_remainder_z
      - .offset:         72
        .size:           8
        .value_kind:     hidden_global_offset_x
      - .offset:         80
        .size:           8
        .value_kind:     hidden_global_offset_y
      - .offset:         88
        .size:           8
        .value_kind:     hidden_global_offset_z
      - .offset:         96
        .size:           2
        .value_kind:     hidden_grid_dims
    .group_segment_fixed_size: 0
    .kernarg_segment_align: 8
    .kernarg_segment_size: 288
    .language:       OpenCL C
    .language_version:
      - 2
      - 0
    .max_flat_workgroup_size: 1024
    .name:           _ZN9rocsparseL25kernel_get_permuted_arrayILj1024E21rocsparse_complex_numIdEiEEvT1_PKT0_PS4_PKS3_
    .private_segment_fixed_size: 0
    .sgpr_count:     11
    .sgpr_spill_count: 0
    .symbol:         _ZN9rocsparseL25kernel_get_permuted_arrayILj1024E21rocsparse_complex_numIdEiEEvT1_PKT0_PS4_PKS3_.kd
    .uniform_work_group_size: 1
    .uses_dynamic_stack: false
    .vgpr_count:     7
    .vgpr_spill_count: 0
    .wavefront_size: 64
  - .agpr_count:     0
    .args:
      - .offset:         0
        .size:           4
        .value_kind:     by_value
      - .address_space:  global
        .offset:         8
        .size:           8
        .value_kind:     global_buffer
      - .address_space:  global
        .offset:         16
        .size:           8
        .value_kind:     global_buffer
      - .address_space:  global
        .offset:         24
        .size:           8
        .value_kind:     global_buffer
      - .offset:         32
        .size:           4
        .value_kind:     hidden_block_count_x
      - .offset:         36
        .size:           4
        .value_kind:     hidden_block_count_y
      - .offset:         40
        .size:           4
        .value_kind:     hidden_block_count_z
      - .offset:         44
        .size:           2
        .value_kind:     hidden_group_size_x
      - .offset:         46
        .size:           2
        .value_kind:     hidden_group_size_y
      - .offset:         48
        .size:           2
        .value_kind:     hidden_group_size_z
      - .offset:         50
        .size:           2
        .value_kind:     hidden_remainder_x
      - .offset:         52
        .size:           2
        .value_kind:     hidden_remainder_y
      - .offset:         54
        .size:           2
        .value_kind:     hidden_remainder_z
      - .offset:         72
        .size:           8
        .value_kind:     hidden_global_offset_x
      - .offset:         80
        .size:           8
        .value_kind:     hidden_global_offset_y
      - .offset:         88
        .size:           8
        .value_kind:     hidden_global_offset_z
      - .offset:         96
        .size:           2
        .value_kind:     hidden_grid_dims
    .group_segment_fixed_size: 0
    .kernarg_segment_align: 8
    .kernarg_segment_size: 288
    .language:       OpenCL C
    .language_version:
      - 2
      - 0
    .max_flat_workgroup_size: 1024
    .name:           _ZN9rocsparseL25kernel_set_permuted_arrayILj1024E21rocsparse_complex_numIdEiEEvT1_PT0_PKS4_PKS3_
    .private_segment_fixed_size: 0
    .sgpr_count:     12
    .sgpr_spill_count: 0
    .symbol:         _ZN9rocsparseL25kernel_set_permuted_arrayILj1024E21rocsparse_complex_numIdEiEEvT1_PT0_PKS4_PKS3_.kd
    .uniform_work_group_size: 1
    .uses_dynamic_stack: false
    .vgpr_count:     7
    .vgpr_spill_count: 0
    .wavefront_size: 64
  - .agpr_count:     0
    .args:
      - .offset:         0
        .size:           4
        .value_kind:     by_value
      - .address_space:  global
        .offset:         8
        .size:           8
        .value_kind:     global_buffer
      - .offset:         16
        .size:           4
        .value_kind:     hidden_block_count_x
      - .offset:         20
        .size:           4
        .value_kind:     hidden_block_count_y
      - .offset:         24
        .size:           4
        .value_kind:     hidden_block_count_z
      - .offset:         28
        .size:           2
        .value_kind:     hidden_group_size_x
      - .offset:         30
        .size:           2
        .value_kind:     hidden_group_size_y
      - .offset:         32
        .size:           2
        .value_kind:     hidden_group_size_z
      - .offset:         34
        .size:           2
        .value_kind:     hidden_remainder_x
      - .offset:         36
        .size:           2
        .value_kind:     hidden_remainder_y
      - .offset:         38
        .size:           2
        .value_kind:     hidden_remainder_z
      - .offset:         56
        .size:           8
        .value_kind:     hidden_global_offset_x
      - .offset:         64
        .size:           8
        .value_kind:     hidden_global_offset_y
      - .offset:         72
        .size:           8
        .value_kind:     hidden_global_offset_z
      - .offset:         80
        .size:           2
        .value_kind:     hidden_grid_dims
    .group_segment_fixed_size: 0
    .kernarg_segment_align: 8
    .kernarg_segment_size: 272
    .language:       OpenCL C
    .language_version:
      - 2
      - 0
    .max_flat_workgroup_size: 256
    .name:           _ZN9rocsparseL25kernel_set_identity_arrayILj256EfiEEvT1_PT0_
    .private_segment_fixed_size: 0
    .sgpr_count:     11
    .sgpr_spill_count: 0
    .symbol:         _ZN9rocsparseL25kernel_set_identity_arrayILj256EfiEEvT1_PT0_.kd
    .uniform_work_group_size: 1
    .uses_dynamic_stack: false
    .vgpr_count:     3
    .vgpr_spill_count: 0
    .wavefront_size: 64
  - .agpr_count:     0
    .args:
      - .offset:         0
        .size:           4
        .value_kind:     by_value
      - .address_space:  global
        .offset:         8
        .size:           8
        .value_kind:     global_buffer
      - .address_space:  global
        .offset:         16
        .size:           8
        .value_kind:     global_buffer
      - .address_space:  global
        .offset:         24
        .size:           8
        .value_kind:     global_buffer
      - .offset:         32
        .size:           4
        .value_kind:     hidden_block_count_x
      - .offset:         36
        .size:           4
        .value_kind:     hidden_block_count_y
      - .offset:         40
        .size:           4
        .value_kind:     hidden_block_count_z
      - .offset:         44
        .size:           2
        .value_kind:     hidden_group_size_x
      - .offset:         46
        .size:           2
        .value_kind:     hidden_group_size_y
      - .offset:         48
        .size:           2
        .value_kind:     hidden_group_size_z
      - .offset:         50
        .size:           2
        .value_kind:     hidden_remainder_x
      - .offset:         52
        .size:           2
        .value_kind:     hidden_remainder_y
      - .offset:         54
        .size:           2
        .value_kind:     hidden_remainder_z
      - .offset:         72
        .size:           8
        .value_kind:     hidden_global_offset_x
      - .offset:         80
        .size:           8
        .value_kind:     hidden_global_offset_y
      - .offset:         88
        .size:           8
        .value_kind:     hidden_global_offset_z
      - .offset:         96
        .size:           2
        .value_kind:     hidden_grid_dims
    .group_segment_fixed_size: 0
    .kernarg_segment_align: 8
    .kernarg_segment_size: 288
    .language:       OpenCL C
    .language_version:
      - 2
      - 0
    .max_flat_workgroup_size: 256
    .name:           _ZN9rocsparseL25kernel_get_permuted_arrayILj256EfiEEvT1_PKT0_PS2_PKS1_
    .private_segment_fixed_size: 0
    .sgpr_count:     11
    .sgpr_spill_count: 0
    .symbol:         _ZN9rocsparseL25kernel_get_permuted_arrayILj256EfiEEvT1_PKT0_PS2_PKS1_.kd
    .uniform_work_group_size: 1
    .uses_dynamic_stack: false
    .vgpr_count:     5
    .vgpr_spill_count: 0
    .wavefront_size: 64
  - .agpr_count:     0
    .args:
      - .offset:         0
        .size:           4
        .value_kind:     by_value
      - .address_space:  global
        .offset:         8
        .size:           8
        .value_kind:     global_buffer
      - .address_space:  global
        .offset:         16
        .size:           8
        .value_kind:     global_buffer
      - .address_space:  global
        .offset:         24
        .size:           8
        .value_kind:     global_buffer
      - .offset:         32
        .size:           4
        .value_kind:     hidden_block_count_x
      - .offset:         36
        .size:           4
        .value_kind:     hidden_block_count_y
      - .offset:         40
        .size:           4
        .value_kind:     hidden_block_count_z
      - .offset:         44
        .size:           2
        .value_kind:     hidden_group_size_x
      - .offset:         46
        .size:           2
        .value_kind:     hidden_group_size_y
      - .offset:         48
        .size:           2
        .value_kind:     hidden_group_size_z
      - .offset:         50
        .size:           2
        .value_kind:     hidden_remainder_x
      - .offset:         52
        .size:           2
        .value_kind:     hidden_remainder_y
      - .offset:         54
        .size:           2
        .value_kind:     hidden_remainder_z
      - .offset:         72
        .size:           8
        .value_kind:     hidden_global_offset_x
      - .offset:         80
        .size:           8
        .value_kind:     hidden_global_offset_y
      - .offset:         88
        .size:           8
        .value_kind:     hidden_global_offset_z
      - .offset:         96
        .size:           2
        .value_kind:     hidden_grid_dims
    .group_segment_fixed_size: 0
    .kernarg_segment_align: 8
    .kernarg_segment_size: 288
    .language:       OpenCL C
    .language_version:
      - 2
      - 0
    .max_flat_workgroup_size: 256
    .name:           _ZN9rocsparseL25kernel_set_permuted_arrayILj256EfiEEvT1_PT0_PKS2_PKS1_
    .private_segment_fixed_size: 0
    .sgpr_count:     12
    .sgpr_spill_count: 0
    .symbol:         _ZN9rocsparseL25kernel_set_permuted_arrayILj256EfiEEvT1_PT0_PKS2_PKS1_.kd
    .uniform_work_group_size: 1
    .uses_dynamic_stack: false
    .vgpr_count:     6
    .vgpr_spill_count: 0
    .wavefront_size: 64
  - .agpr_count:     0
    .args:
      - .offset:         0
        .size:           4
        .value_kind:     by_value
      - .address_space:  global
        .offset:         8
        .size:           8
        .value_kind:     global_buffer
      - .offset:         16
        .size:           4
        .value_kind:     hidden_block_count_x
      - .offset:         20
        .size:           4
        .value_kind:     hidden_block_count_y
      - .offset:         24
        .size:           4
        .value_kind:     hidden_block_count_z
      - .offset:         28
        .size:           2
        .value_kind:     hidden_group_size_x
      - .offset:         30
        .size:           2
        .value_kind:     hidden_group_size_y
      - .offset:         32
        .size:           2
        .value_kind:     hidden_group_size_z
      - .offset:         34
        .size:           2
        .value_kind:     hidden_remainder_x
      - .offset:         36
        .size:           2
        .value_kind:     hidden_remainder_y
      - .offset:         38
        .size:           2
        .value_kind:     hidden_remainder_z
      - .offset:         56
        .size:           8
        .value_kind:     hidden_global_offset_x
      - .offset:         64
        .size:           8
        .value_kind:     hidden_global_offset_y
      - .offset:         72
        .size:           8
        .value_kind:     hidden_global_offset_z
      - .offset:         80
        .size:           2
        .value_kind:     hidden_grid_dims
    .group_segment_fixed_size: 0
    .kernarg_segment_align: 8
    .kernarg_segment_size: 272
    .language:       OpenCL C
    .language_version:
      - 2
      - 0
    .max_flat_workgroup_size: 256
    .name:           _ZN9rocsparseL25kernel_set_identity_arrayILj256EdiEEvT1_PT0_
    .private_segment_fixed_size: 0
    .sgpr_count:     11
    .sgpr_spill_count: 0
    .symbol:         _ZN9rocsparseL25kernel_set_identity_arrayILj256EdiEEvT1_PT0_.kd
    .uniform_work_group_size: 1
    .uses_dynamic_stack: false
    .vgpr_count:     4
    .vgpr_spill_count: 0
    .wavefront_size: 64
  - .agpr_count:     0
    .args:
      - .offset:         0
        .size:           4
        .value_kind:     by_value
      - .address_space:  global
        .offset:         8
        .size:           8
        .value_kind:     global_buffer
      - .address_space:  global
        .offset:         16
        .size:           8
        .value_kind:     global_buffer
      - .address_space:  global
        .offset:         24
        .size:           8
        .value_kind:     global_buffer
      - .offset:         32
        .size:           4
        .value_kind:     hidden_block_count_x
      - .offset:         36
        .size:           4
        .value_kind:     hidden_block_count_y
      - .offset:         40
        .size:           4
        .value_kind:     hidden_block_count_z
      - .offset:         44
        .size:           2
        .value_kind:     hidden_group_size_x
      - .offset:         46
        .size:           2
        .value_kind:     hidden_group_size_y
      - .offset:         48
        .size:           2
        .value_kind:     hidden_group_size_z
      - .offset:         50
        .size:           2
        .value_kind:     hidden_remainder_x
      - .offset:         52
        .size:           2
        .value_kind:     hidden_remainder_y
      - .offset:         54
        .size:           2
        .value_kind:     hidden_remainder_z
      - .offset:         72
        .size:           8
        .value_kind:     hidden_global_offset_x
      - .offset:         80
        .size:           8
        .value_kind:     hidden_global_offset_y
      - .offset:         88
        .size:           8
        .value_kind:     hidden_global_offset_z
      - .offset:         96
        .size:           2
        .value_kind:     hidden_grid_dims
    .group_segment_fixed_size: 0
    .kernarg_segment_align: 8
    .kernarg_segment_size: 288
    .language:       OpenCL C
    .language_version:
      - 2
      - 0
    .max_flat_workgroup_size: 256
    .name:           _ZN9rocsparseL25kernel_get_permuted_arrayILj256EdiEEvT1_PKT0_PS2_PKS1_
    .private_segment_fixed_size: 0
    .sgpr_count:     11
    .sgpr_spill_count: 0
    .symbol:         _ZN9rocsparseL25kernel_get_permuted_arrayILj256EdiEEvT1_PKT0_PS2_PKS1_.kd
    .uniform_work_group_size: 1
    .uses_dynamic_stack: false
    .vgpr_count:     5
    .vgpr_spill_count: 0
    .wavefront_size: 64
  - .agpr_count:     0
    .args:
      - .offset:         0
        .size:           4
        .value_kind:     by_value
      - .address_space:  global
        .offset:         8
        .size:           8
        .value_kind:     global_buffer
      - .address_space:  global
        .offset:         16
        .size:           8
        .value_kind:     global_buffer
      - .address_space:  global
        .offset:         24
        .size:           8
        .value_kind:     global_buffer
      - .offset:         32
        .size:           4
        .value_kind:     hidden_block_count_x
      - .offset:         36
        .size:           4
        .value_kind:     hidden_block_count_y
      - .offset:         40
        .size:           4
        .value_kind:     hidden_block_count_z
      - .offset:         44
        .size:           2
        .value_kind:     hidden_group_size_x
      - .offset:         46
        .size:           2
        .value_kind:     hidden_group_size_y
      - .offset:         48
        .size:           2
        .value_kind:     hidden_group_size_z
      - .offset:         50
        .size:           2
        .value_kind:     hidden_remainder_x
      - .offset:         52
        .size:           2
        .value_kind:     hidden_remainder_y
      - .offset:         54
        .size:           2
        .value_kind:     hidden_remainder_z
      - .offset:         72
        .size:           8
        .value_kind:     hidden_global_offset_x
      - .offset:         80
        .size:           8
        .value_kind:     hidden_global_offset_y
      - .offset:         88
        .size:           8
        .value_kind:     hidden_global_offset_z
      - .offset:         96
        .size:           2
        .value_kind:     hidden_grid_dims
    .group_segment_fixed_size: 0
    .kernarg_segment_align: 8
    .kernarg_segment_size: 288
    .language:       OpenCL C
    .language_version:
      - 2
      - 0
    .max_flat_workgroup_size: 256
    .name:           _ZN9rocsparseL25kernel_set_permuted_arrayILj256EdiEEvT1_PT0_PKS2_PKS1_
    .private_segment_fixed_size: 0
    .sgpr_count:     12
    .sgpr_spill_count: 0
    .symbol:         _ZN9rocsparseL25kernel_set_permuted_arrayILj256EdiEEvT1_PT0_PKS2_PKS1_.kd
    .uniform_work_group_size: 1
    .uses_dynamic_stack: false
    .vgpr_count:     5
    .vgpr_spill_count: 0
    .wavefront_size: 64
  - .agpr_count:     0
    .args:
      - .offset:         0
        .size:           4
        .value_kind:     by_value
      - .address_space:  global
        .offset:         8
        .size:           8
        .value_kind:     global_buffer
      - .offset:         16
        .size:           4
        .value_kind:     hidden_block_count_x
      - .offset:         20
        .size:           4
        .value_kind:     hidden_block_count_y
      - .offset:         24
        .size:           4
        .value_kind:     hidden_block_count_z
      - .offset:         28
        .size:           2
        .value_kind:     hidden_group_size_x
      - .offset:         30
        .size:           2
        .value_kind:     hidden_group_size_y
      - .offset:         32
        .size:           2
        .value_kind:     hidden_group_size_z
      - .offset:         34
        .size:           2
        .value_kind:     hidden_remainder_x
      - .offset:         36
        .size:           2
        .value_kind:     hidden_remainder_y
      - .offset:         38
        .size:           2
        .value_kind:     hidden_remainder_z
      - .offset:         56
        .size:           8
        .value_kind:     hidden_global_offset_x
      - .offset:         64
        .size:           8
        .value_kind:     hidden_global_offset_y
      - .offset:         72
        .size:           8
        .value_kind:     hidden_global_offset_z
      - .offset:         80
        .size:           2
        .value_kind:     hidden_grid_dims
    .group_segment_fixed_size: 0
    .kernarg_segment_align: 8
    .kernarg_segment_size: 272
    .language:       OpenCL C
    .language_version:
      - 2
      - 0
    .max_flat_workgroup_size: 256
    .name:           _ZN9rocsparseL25kernel_set_identity_arrayILj256E21rocsparse_complex_numIfEiEEvT1_PT0_
    .private_segment_fixed_size: 0
    .sgpr_count:     11
    .sgpr_spill_count: 0
    .symbol:         _ZN9rocsparseL25kernel_set_identity_arrayILj256E21rocsparse_complex_numIfEiEEvT1_PT0_.kd
    .uniform_work_group_size: 1
    .uses_dynamic_stack: false
    .vgpr_count:     4
    .vgpr_spill_count: 0
    .wavefront_size: 64
  - .agpr_count:     0
    .args:
      - .offset:         0
        .size:           4
        .value_kind:     by_value
      - .address_space:  global
        .offset:         8
        .size:           8
        .value_kind:     global_buffer
      - .address_space:  global
        .offset:         16
        .size:           8
        .value_kind:     global_buffer
      - .address_space:  global
        .offset:         24
        .size:           8
        .value_kind:     global_buffer
      - .offset:         32
        .size:           4
        .value_kind:     hidden_block_count_x
      - .offset:         36
        .size:           4
        .value_kind:     hidden_block_count_y
      - .offset:         40
        .size:           4
        .value_kind:     hidden_block_count_z
      - .offset:         44
        .size:           2
        .value_kind:     hidden_group_size_x
      - .offset:         46
        .size:           2
        .value_kind:     hidden_group_size_y
      - .offset:         48
        .size:           2
        .value_kind:     hidden_group_size_z
      - .offset:         50
        .size:           2
        .value_kind:     hidden_remainder_x
      - .offset:         52
        .size:           2
        .value_kind:     hidden_remainder_y
      - .offset:         54
        .size:           2
        .value_kind:     hidden_remainder_z
      - .offset:         72
        .size:           8
        .value_kind:     hidden_global_offset_x
      - .offset:         80
        .size:           8
        .value_kind:     hidden_global_offset_y
      - .offset:         88
        .size:           8
        .value_kind:     hidden_global_offset_z
      - .offset:         96
        .size:           2
        .value_kind:     hidden_grid_dims
    .group_segment_fixed_size: 0
    .kernarg_segment_align: 8
    .kernarg_segment_size: 288
    .language:       OpenCL C
    .language_version:
      - 2
      - 0
    .max_flat_workgroup_size: 256
    .name:           _ZN9rocsparseL25kernel_get_permuted_arrayILj256E21rocsparse_complex_numIfEiEEvT1_PKT0_PS4_PKS3_
    .private_segment_fixed_size: 0
    .sgpr_count:     11
    .sgpr_spill_count: 0
    .symbol:         _ZN9rocsparseL25kernel_get_permuted_arrayILj256E21rocsparse_complex_numIfEiEEvT1_PKT0_PS4_PKS3_.kd
    .uniform_work_group_size: 1
    .uses_dynamic_stack: false
    .vgpr_count:     5
    .vgpr_spill_count: 0
    .wavefront_size: 64
  - .agpr_count:     0
    .args:
      - .offset:         0
        .size:           4
        .value_kind:     by_value
      - .address_space:  global
        .offset:         8
        .size:           8
        .value_kind:     global_buffer
      - .address_space:  global
        .offset:         16
        .size:           8
        .value_kind:     global_buffer
      - .address_space:  global
        .offset:         24
        .size:           8
        .value_kind:     global_buffer
      - .offset:         32
        .size:           4
        .value_kind:     hidden_block_count_x
      - .offset:         36
        .size:           4
        .value_kind:     hidden_block_count_y
      - .offset:         40
        .size:           4
        .value_kind:     hidden_block_count_z
      - .offset:         44
        .size:           2
        .value_kind:     hidden_group_size_x
      - .offset:         46
        .size:           2
        .value_kind:     hidden_group_size_y
      - .offset:         48
        .size:           2
        .value_kind:     hidden_group_size_z
      - .offset:         50
        .size:           2
        .value_kind:     hidden_remainder_x
      - .offset:         52
        .size:           2
        .value_kind:     hidden_remainder_y
      - .offset:         54
        .size:           2
        .value_kind:     hidden_remainder_z
      - .offset:         72
        .size:           8
        .value_kind:     hidden_global_offset_x
      - .offset:         80
        .size:           8
        .value_kind:     hidden_global_offset_y
      - .offset:         88
        .size:           8
        .value_kind:     hidden_global_offset_z
      - .offset:         96
        .size:           2
        .value_kind:     hidden_grid_dims
    .group_segment_fixed_size: 0
    .kernarg_segment_align: 8
    .kernarg_segment_size: 288
    .language:       OpenCL C
    .language_version:
      - 2
      - 0
    .max_flat_workgroup_size: 256
    .name:           _ZN9rocsparseL25kernel_set_permuted_arrayILj256E21rocsparse_complex_numIfEiEEvT1_PT0_PKS4_PKS3_
    .private_segment_fixed_size: 0
    .sgpr_count:     12
    .sgpr_spill_count: 0
    .symbol:         _ZN9rocsparseL25kernel_set_permuted_arrayILj256E21rocsparse_complex_numIfEiEEvT1_PT0_PKS4_PKS3_.kd
    .uniform_work_group_size: 1
    .uses_dynamic_stack: false
    .vgpr_count:     5
    .vgpr_spill_count: 0
    .wavefront_size: 64
  - .agpr_count:     0
    .args:
      - .offset:         0
        .size:           4
        .value_kind:     by_value
      - .address_space:  global
        .offset:         8
        .size:           8
        .value_kind:     global_buffer
      - .offset:         16
        .size:           4
        .value_kind:     hidden_block_count_x
      - .offset:         20
        .size:           4
        .value_kind:     hidden_block_count_y
      - .offset:         24
        .size:           4
        .value_kind:     hidden_block_count_z
      - .offset:         28
        .size:           2
        .value_kind:     hidden_group_size_x
      - .offset:         30
        .size:           2
        .value_kind:     hidden_group_size_y
      - .offset:         32
        .size:           2
        .value_kind:     hidden_group_size_z
      - .offset:         34
        .size:           2
        .value_kind:     hidden_remainder_x
      - .offset:         36
        .size:           2
        .value_kind:     hidden_remainder_y
      - .offset:         38
        .size:           2
        .value_kind:     hidden_remainder_z
      - .offset:         56
        .size:           8
        .value_kind:     hidden_global_offset_x
      - .offset:         64
        .size:           8
        .value_kind:     hidden_global_offset_y
      - .offset:         72
        .size:           8
        .value_kind:     hidden_global_offset_z
      - .offset:         80
        .size:           2
        .value_kind:     hidden_grid_dims
    .group_segment_fixed_size: 0
    .kernarg_segment_align: 8
    .kernarg_segment_size: 272
    .language:       OpenCL C
    .language_version:
      - 2
      - 0
    .max_flat_workgroup_size: 256
    .name:           _ZN9rocsparseL25kernel_set_identity_arrayILj256E21rocsparse_complex_numIdEiEEvT1_PT0_
    .private_segment_fixed_size: 0
    .sgpr_count:     11
    .sgpr_spill_count: 0
    .symbol:         _ZN9rocsparseL25kernel_set_identity_arrayILj256E21rocsparse_complex_numIdEiEEvT1_PT0_.kd
    .uniform_work_group_size: 1
    .uses_dynamic_stack: false
    .vgpr_count:     6
    .vgpr_spill_count: 0
    .wavefront_size: 64
  - .agpr_count:     0
    .args:
      - .offset:         0
        .size:           4
        .value_kind:     by_value
      - .address_space:  global
        .offset:         8
        .size:           8
        .value_kind:     global_buffer
      - .address_space:  global
        .offset:         16
        .size:           8
        .value_kind:     global_buffer
      - .address_space:  global
        .offset:         24
        .size:           8
        .value_kind:     global_buffer
      - .offset:         32
        .size:           4
        .value_kind:     hidden_block_count_x
      - .offset:         36
        .size:           4
        .value_kind:     hidden_block_count_y
      - .offset:         40
        .size:           4
        .value_kind:     hidden_block_count_z
      - .offset:         44
        .size:           2
        .value_kind:     hidden_group_size_x
      - .offset:         46
        .size:           2
        .value_kind:     hidden_group_size_y
      - .offset:         48
        .size:           2
        .value_kind:     hidden_group_size_z
      - .offset:         50
        .size:           2
        .value_kind:     hidden_remainder_x
      - .offset:         52
        .size:           2
        .value_kind:     hidden_remainder_y
      - .offset:         54
        .size:           2
        .value_kind:     hidden_remainder_z
      - .offset:         72
        .size:           8
        .value_kind:     hidden_global_offset_x
      - .offset:         80
        .size:           8
        .value_kind:     hidden_global_offset_y
      - .offset:         88
        .size:           8
        .value_kind:     hidden_global_offset_z
      - .offset:         96
        .size:           2
        .value_kind:     hidden_grid_dims
    .group_segment_fixed_size: 0
    .kernarg_segment_align: 8
    .kernarg_segment_size: 288
    .language:       OpenCL C
    .language_version:
      - 2
      - 0
    .max_flat_workgroup_size: 256
    .name:           _ZN9rocsparseL25kernel_get_permuted_arrayILj256E21rocsparse_complex_numIdEiEEvT1_PKT0_PS4_PKS3_
    .private_segment_fixed_size: 0
    .sgpr_count:     11
    .sgpr_spill_count: 0
    .symbol:         _ZN9rocsparseL25kernel_get_permuted_arrayILj256E21rocsparse_complex_numIdEiEEvT1_PKT0_PS4_PKS3_.kd
    .uniform_work_group_size: 1
    .uses_dynamic_stack: false
    .vgpr_count:     7
    .vgpr_spill_count: 0
    .wavefront_size: 64
  - .agpr_count:     0
    .args:
      - .offset:         0
        .size:           4
        .value_kind:     by_value
      - .address_space:  global
        .offset:         8
        .size:           8
        .value_kind:     global_buffer
      - .address_space:  global
        .offset:         16
        .size:           8
        .value_kind:     global_buffer
      - .address_space:  global
        .offset:         24
        .size:           8
        .value_kind:     global_buffer
      - .offset:         32
        .size:           4
        .value_kind:     hidden_block_count_x
      - .offset:         36
        .size:           4
        .value_kind:     hidden_block_count_y
      - .offset:         40
        .size:           4
        .value_kind:     hidden_block_count_z
      - .offset:         44
        .size:           2
        .value_kind:     hidden_group_size_x
      - .offset:         46
        .size:           2
        .value_kind:     hidden_group_size_y
      - .offset:         48
        .size:           2
        .value_kind:     hidden_group_size_z
      - .offset:         50
        .size:           2
        .value_kind:     hidden_remainder_x
      - .offset:         52
        .size:           2
        .value_kind:     hidden_remainder_y
      - .offset:         54
        .size:           2
        .value_kind:     hidden_remainder_z
      - .offset:         72
        .size:           8
        .value_kind:     hidden_global_offset_x
      - .offset:         80
        .size:           8
        .value_kind:     hidden_global_offset_y
      - .offset:         88
        .size:           8
        .value_kind:     hidden_global_offset_z
      - .offset:         96
        .size:           2
        .value_kind:     hidden_grid_dims
    .group_segment_fixed_size: 0
    .kernarg_segment_align: 8
    .kernarg_segment_size: 288
    .language:       OpenCL C
    .language_version:
      - 2
      - 0
    .max_flat_workgroup_size: 256
    .name:           _ZN9rocsparseL25kernel_set_permuted_arrayILj256E21rocsparse_complex_numIdEiEEvT1_PT0_PKS4_PKS3_
    .private_segment_fixed_size: 0
    .sgpr_count:     12
    .sgpr_spill_count: 0
    .symbol:         _ZN9rocsparseL25kernel_set_permuted_arrayILj256E21rocsparse_complex_numIdEiEEvT1_PT0_PKS4_PKS3_.kd
    .uniform_work_group_size: 1
    .uses_dynamic_stack: false
    .vgpr_count:     7
    .vgpr_spill_count: 0
    .wavefront_size: 64
  - .agpr_count:     0
    .args:
      - .offset:         0
        .size:           4
        .value_kind:     by_value
      - .address_space:  global
        .offset:         8
        .size:           8
        .value_kind:     global_buffer
      - .offset:         16
        .size:           4
        .value_kind:     hidden_block_count_x
      - .offset:         20
        .size:           4
        .value_kind:     hidden_block_count_y
      - .offset:         24
        .size:           4
        .value_kind:     hidden_block_count_z
      - .offset:         28
        .size:           2
        .value_kind:     hidden_group_size_x
      - .offset:         30
        .size:           2
        .value_kind:     hidden_group_size_y
      - .offset:         32
        .size:           2
        .value_kind:     hidden_group_size_z
      - .offset:         34
        .size:           2
        .value_kind:     hidden_remainder_x
      - .offset:         36
        .size:           2
        .value_kind:     hidden_remainder_y
      - .offset:         38
        .size:           2
        .value_kind:     hidden_remainder_z
      - .offset:         56
        .size:           8
        .value_kind:     hidden_global_offset_x
      - .offset:         64
        .size:           8
        .value_kind:     hidden_global_offset_y
      - .offset:         72
        .size:           8
        .value_kind:     hidden_global_offset_z
      - .offset:         80
        .size:           2
        .value_kind:     hidden_grid_dims
    .group_segment_fixed_size: 0
    .kernarg_segment_align: 8
    .kernarg_segment_size: 272
    .language:       OpenCL C
    .language_version:
      - 2
      - 0
    .max_flat_workgroup_size: 512
    .name:           _ZN9rocsparseL25kernel_set_identity_arrayILj512EfiEEvT1_PT0_
    .private_segment_fixed_size: 0
    .sgpr_count:     11
    .sgpr_spill_count: 0
    .symbol:         _ZN9rocsparseL25kernel_set_identity_arrayILj512EfiEEvT1_PT0_.kd
    .uniform_work_group_size: 1
    .uses_dynamic_stack: false
    .vgpr_count:     3
    .vgpr_spill_count: 0
    .wavefront_size: 64
  - .agpr_count:     0
    .args:
      - .offset:         0
        .size:           4
        .value_kind:     by_value
      - .address_space:  global
        .offset:         8
        .size:           8
        .value_kind:     global_buffer
      - .address_space:  global
        .offset:         16
        .size:           8
        .value_kind:     global_buffer
      - .address_space:  global
        .offset:         24
        .size:           8
        .value_kind:     global_buffer
      - .offset:         32
        .size:           4
        .value_kind:     hidden_block_count_x
      - .offset:         36
        .size:           4
        .value_kind:     hidden_block_count_y
      - .offset:         40
        .size:           4
        .value_kind:     hidden_block_count_z
      - .offset:         44
        .size:           2
        .value_kind:     hidden_group_size_x
      - .offset:         46
        .size:           2
        .value_kind:     hidden_group_size_y
      - .offset:         48
        .size:           2
        .value_kind:     hidden_group_size_z
      - .offset:         50
        .size:           2
        .value_kind:     hidden_remainder_x
      - .offset:         52
        .size:           2
        .value_kind:     hidden_remainder_y
      - .offset:         54
        .size:           2
        .value_kind:     hidden_remainder_z
      - .offset:         72
        .size:           8
        .value_kind:     hidden_global_offset_x
      - .offset:         80
        .size:           8
        .value_kind:     hidden_global_offset_y
      - .offset:         88
        .size:           8
        .value_kind:     hidden_global_offset_z
      - .offset:         96
        .size:           2
        .value_kind:     hidden_grid_dims
    .group_segment_fixed_size: 0
    .kernarg_segment_align: 8
    .kernarg_segment_size: 288
    .language:       OpenCL C
    .language_version:
      - 2
      - 0
    .max_flat_workgroup_size: 512
    .name:           _ZN9rocsparseL25kernel_get_permuted_arrayILj512EfiEEvT1_PKT0_PS2_PKS1_
    .private_segment_fixed_size: 0
    .sgpr_count:     11
    .sgpr_spill_count: 0
    .symbol:         _ZN9rocsparseL25kernel_get_permuted_arrayILj512EfiEEvT1_PKT0_PS2_PKS1_.kd
    .uniform_work_group_size: 1
    .uses_dynamic_stack: false
    .vgpr_count:     5
    .vgpr_spill_count: 0
    .wavefront_size: 64
  - .agpr_count:     0
    .args:
      - .offset:         0
        .size:           4
        .value_kind:     by_value
      - .address_space:  global
        .offset:         8
        .size:           8
        .value_kind:     global_buffer
      - .address_space:  global
        .offset:         16
        .size:           8
        .value_kind:     global_buffer
      - .address_space:  global
        .offset:         24
        .size:           8
        .value_kind:     global_buffer
      - .offset:         32
        .size:           4
        .value_kind:     hidden_block_count_x
      - .offset:         36
        .size:           4
        .value_kind:     hidden_block_count_y
      - .offset:         40
        .size:           4
        .value_kind:     hidden_block_count_z
      - .offset:         44
        .size:           2
        .value_kind:     hidden_group_size_x
      - .offset:         46
        .size:           2
        .value_kind:     hidden_group_size_y
      - .offset:         48
        .size:           2
        .value_kind:     hidden_group_size_z
      - .offset:         50
        .size:           2
        .value_kind:     hidden_remainder_x
      - .offset:         52
        .size:           2
        .value_kind:     hidden_remainder_y
      - .offset:         54
        .size:           2
        .value_kind:     hidden_remainder_z
      - .offset:         72
        .size:           8
        .value_kind:     hidden_global_offset_x
      - .offset:         80
        .size:           8
        .value_kind:     hidden_global_offset_y
      - .offset:         88
        .size:           8
        .value_kind:     hidden_global_offset_z
      - .offset:         96
        .size:           2
        .value_kind:     hidden_grid_dims
    .group_segment_fixed_size: 0
    .kernarg_segment_align: 8
    .kernarg_segment_size: 288
    .language:       OpenCL C
    .language_version:
      - 2
      - 0
    .max_flat_workgroup_size: 512
    .name:           _ZN9rocsparseL25kernel_set_permuted_arrayILj512EfiEEvT1_PT0_PKS2_PKS1_
    .private_segment_fixed_size: 0
    .sgpr_count:     12
    .sgpr_spill_count: 0
    .symbol:         _ZN9rocsparseL25kernel_set_permuted_arrayILj512EfiEEvT1_PT0_PKS2_PKS1_.kd
    .uniform_work_group_size: 1
    .uses_dynamic_stack: false
    .vgpr_count:     6
    .vgpr_spill_count: 0
    .wavefront_size: 64
  - .agpr_count:     0
    .args:
      - .offset:         0
        .size:           4
        .value_kind:     by_value
      - .address_space:  global
        .offset:         8
        .size:           8
        .value_kind:     global_buffer
      - .offset:         16
        .size:           4
        .value_kind:     hidden_block_count_x
      - .offset:         20
        .size:           4
        .value_kind:     hidden_block_count_y
      - .offset:         24
        .size:           4
        .value_kind:     hidden_block_count_z
      - .offset:         28
        .size:           2
        .value_kind:     hidden_group_size_x
      - .offset:         30
        .size:           2
        .value_kind:     hidden_group_size_y
      - .offset:         32
        .size:           2
        .value_kind:     hidden_group_size_z
      - .offset:         34
        .size:           2
        .value_kind:     hidden_remainder_x
      - .offset:         36
        .size:           2
        .value_kind:     hidden_remainder_y
      - .offset:         38
        .size:           2
        .value_kind:     hidden_remainder_z
      - .offset:         56
        .size:           8
        .value_kind:     hidden_global_offset_x
      - .offset:         64
        .size:           8
        .value_kind:     hidden_global_offset_y
      - .offset:         72
        .size:           8
        .value_kind:     hidden_global_offset_z
      - .offset:         80
        .size:           2
        .value_kind:     hidden_grid_dims
    .group_segment_fixed_size: 0
    .kernarg_segment_align: 8
    .kernarg_segment_size: 272
    .language:       OpenCL C
    .language_version:
      - 2
      - 0
    .max_flat_workgroup_size: 512
    .name:           _ZN9rocsparseL25kernel_set_identity_arrayILj512EdiEEvT1_PT0_
    .private_segment_fixed_size: 0
    .sgpr_count:     11
    .sgpr_spill_count: 0
    .symbol:         _ZN9rocsparseL25kernel_set_identity_arrayILj512EdiEEvT1_PT0_.kd
    .uniform_work_group_size: 1
    .uses_dynamic_stack: false
    .vgpr_count:     4
    .vgpr_spill_count: 0
    .wavefront_size: 64
  - .agpr_count:     0
    .args:
      - .offset:         0
        .size:           4
        .value_kind:     by_value
      - .address_space:  global
        .offset:         8
        .size:           8
        .value_kind:     global_buffer
      - .address_space:  global
        .offset:         16
        .size:           8
        .value_kind:     global_buffer
      - .address_space:  global
        .offset:         24
        .size:           8
        .value_kind:     global_buffer
      - .offset:         32
        .size:           4
        .value_kind:     hidden_block_count_x
      - .offset:         36
        .size:           4
        .value_kind:     hidden_block_count_y
      - .offset:         40
        .size:           4
        .value_kind:     hidden_block_count_z
      - .offset:         44
        .size:           2
        .value_kind:     hidden_group_size_x
      - .offset:         46
        .size:           2
        .value_kind:     hidden_group_size_y
      - .offset:         48
        .size:           2
        .value_kind:     hidden_group_size_z
      - .offset:         50
        .size:           2
        .value_kind:     hidden_remainder_x
      - .offset:         52
        .size:           2
        .value_kind:     hidden_remainder_y
      - .offset:         54
        .size:           2
        .value_kind:     hidden_remainder_z
      - .offset:         72
        .size:           8
        .value_kind:     hidden_global_offset_x
      - .offset:         80
        .size:           8
        .value_kind:     hidden_global_offset_y
      - .offset:         88
        .size:           8
        .value_kind:     hidden_global_offset_z
      - .offset:         96
        .size:           2
        .value_kind:     hidden_grid_dims
    .group_segment_fixed_size: 0
    .kernarg_segment_align: 8
    .kernarg_segment_size: 288
    .language:       OpenCL C
    .language_version:
      - 2
      - 0
    .max_flat_workgroup_size: 512
    .name:           _ZN9rocsparseL25kernel_get_permuted_arrayILj512EdiEEvT1_PKT0_PS2_PKS1_
    .private_segment_fixed_size: 0
    .sgpr_count:     11
    .sgpr_spill_count: 0
    .symbol:         _ZN9rocsparseL25kernel_get_permuted_arrayILj512EdiEEvT1_PKT0_PS2_PKS1_.kd
    .uniform_work_group_size: 1
    .uses_dynamic_stack: false
    .vgpr_count:     5
    .vgpr_spill_count: 0
    .wavefront_size: 64
  - .agpr_count:     0
    .args:
      - .offset:         0
        .size:           4
        .value_kind:     by_value
      - .address_space:  global
        .offset:         8
        .size:           8
        .value_kind:     global_buffer
      - .address_space:  global
        .offset:         16
        .size:           8
        .value_kind:     global_buffer
      - .address_space:  global
        .offset:         24
        .size:           8
        .value_kind:     global_buffer
      - .offset:         32
        .size:           4
        .value_kind:     hidden_block_count_x
      - .offset:         36
        .size:           4
        .value_kind:     hidden_block_count_y
      - .offset:         40
        .size:           4
        .value_kind:     hidden_block_count_z
      - .offset:         44
        .size:           2
        .value_kind:     hidden_group_size_x
      - .offset:         46
        .size:           2
        .value_kind:     hidden_group_size_y
      - .offset:         48
        .size:           2
        .value_kind:     hidden_group_size_z
      - .offset:         50
        .size:           2
        .value_kind:     hidden_remainder_x
      - .offset:         52
        .size:           2
        .value_kind:     hidden_remainder_y
      - .offset:         54
        .size:           2
        .value_kind:     hidden_remainder_z
      - .offset:         72
        .size:           8
        .value_kind:     hidden_global_offset_x
      - .offset:         80
        .size:           8
        .value_kind:     hidden_global_offset_y
      - .offset:         88
        .size:           8
        .value_kind:     hidden_global_offset_z
      - .offset:         96
        .size:           2
        .value_kind:     hidden_grid_dims
    .group_segment_fixed_size: 0
    .kernarg_segment_align: 8
    .kernarg_segment_size: 288
    .language:       OpenCL C
    .language_version:
      - 2
      - 0
    .max_flat_workgroup_size: 512
    .name:           _ZN9rocsparseL25kernel_set_permuted_arrayILj512EdiEEvT1_PT0_PKS2_PKS1_
    .private_segment_fixed_size: 0
    .sgpr_count:     12
    .sgpr_spill_count: 0
    .symbol:         _ZN9rocsparseL25kernel_set_permuted_arrayILj512EdiEEvT1_PT0_PKS2_PKS1_.kd
    .uniform_work_group_size: 1
    .uses_dynamic_stack: false
    .vgpr_count:     5
    .vgpr_spill_count: 0
    .wavefront_size: 64
  - .agpr_count:     0
    .args:
      - .offset:         0
        .size:           4
        .value_kind:     by_value
      - .address_space:  global
        .offset:         8
        .size:           8
        .value_kind:     global_buffer
      - .offset:         16
        .size:           4
        .value_kind:     hidden_block_count_x
      - .offset:         20
        .size:           4
        .value_kind:     hidden_block_count_y
      - .offset:         24
        .size:           4
        .value_kind:     hidden_block_count_z
      - .offset:         28
        .size:           2
        .value_kind:     hidden_group_size_x
      - .offset:         30
        .size:           2
        .value_kind:     hidden_group_size_y
      - .offset:         32
        .size:           2
        .value_kind:     hidden_group_size_z
      - .offset:         34
        .size:           2
        .value_kind:     hidden_remainder_x
      - .offset:         36
        .size:           2
        .value_kind:     hidden_remainder_y
      - .offset:         38
        .size:           2
        .value_kind:     hidden_remainder_z
      - .offset:         56
        .size:           8
        .value_kind:     hidden_global_offset_x
      - .offset:         64
        .size:           8
        .value_kind:     hidden_global_offset_y
      - .offset:         72
        .size:           8
        .value_kind:     hidden_global_offset_z
      - .offset:         80
        .size:           2
        .value_kind:     hidden_grid_dims
    .group_segment_fixed_size: 0
    .kernarg_segment_align: 8
    .kernarg_segment_size: 272
    .language:       OpenCL C
    .language_version:
      - 2
      - 0
    .max_flat_workgroup_size: 512
    .name:           _ZN9rocsparseL25kernel_set_identity_arrayILj512E21rocsparse_complex_numIfEiEEvT1_PT0_
    .private_segment_fixed_size: 0
    .sgpr_count:     11
    .sgpr_spill_count: 0
    .symbol:         _ZN9rocsparseL25kernel_set_identity_arrayILj512E21rocsparse_complex_numIfEiEEvT1_PT0_.kd
    .uniform_work_group_size: 1
    .uses_dynamic_stack: false
    .vgpr_count:     4
    .vgpr_spill_count: 0
    .wavefront_size: 64
  - .agpr_count:     0
    .args:
      - .offset:         0
        .size:           4
        .value_kind:     by_value
      - .address_space:  global
        .offset:         8
        .size:           8
        .value_kind:     global_buffer
      - .address_space:  global
        .offset:         16
        .size:           8
        .value_kind:     global_buffer
      - .address_space:  global
        .offset:         24
        .size:           8
        .value_kind:     global_buffer
      - .offset:         32
        .size:           4
        .value_kind:     hidden_block_count_x
      - .offset:         36
        .size:           4
        .value_kind:     hidden_block_count_y
      - .offset:         40
        .size:           4
        .value_kind:     hidden_block_count_z
      - .offset:         44
        .size:           2
        .value_kind:     hidden_group_size_x
      - .offset:         46
        .size:           2
        .value_kind:     hidden_group_size_y
      - .offset:         48
        .size:           2
        .value_kind:     hidden_group_size_z
      - .offset:         50
        .size:           2
        .value_kind:     hidden_remainder_x
      - .offset:         52
        .size:           2
        .value_kind:     hidden_remainder_y
      - .offset:         54
        .size:           2
        .value_kind:     hidden_remainder_z
      - .offset:         72
        .size:           8
        .value_kind:     hidden_global_offset_x
      - .offset:         80
        .size:           8
        .value_kind:     hidden_global_offset_y
      - .offset:         88
        .size:           8
        .value_kind:     hidden_global_offset_z
      - .offset:         96
        .size:           2
        .value_kind:     hidden_grid_dims
    .group_segment_fixed_size: 0
    .kernarg_segment_align: 8
    .kernarg_segment_size: 288
    .language:       OpenCL C
    .language_version:
      - 2
      - 0
    .max_flat_workgroup_size: 512
    .name:           _ZN9rocsparseL25kernel_get_permuted_arrayILj512E21rocsparse_complex_numIfEiEEvT1_PKT0_PS4_PKS3_
    .private_segment_fixed_size: 0
    .sgpr_count:     11
    .sgpr_spill_count: 0
    .symbol:         _ZN9rocsparseL25kernel_get_permuted_arrayILj512E21rocsparse_complex_numIfEiEEvT1_PKT0_PS4_PKS3_.kd
    .uniform_work_group_size: 1
    .uses_dynamic_stack: false
    .vgpr_count:     5
    .vgpr_spill_count: 0
    .wavefront_size: 64
  - .agpr_count:     0
    .args:
      - .offset:         0
        .size:           4
        .value_kind:     by_value
      - .address_space:  global
        .offset:         8
        .size:           8
        .value_kind:     global_buffer
      - .address_space:  global
        .offset:         16
        .size:           8
        .value_kind:     global_buffer
      - .address_space:  global
        .offset:         24
        .size:           8
        .value_kind:     global_buffer
      - .offset:         32
        .size:           4
        .value_kind:     hidden_block_count_x
      - .offset:         36
        .size:           4
        .value_kind:     hidden_block_count_y
      - .offset:         40
        .size:           4
        .value_kind:     hidden_block_count_z
      - .offset:         44
        .size:           2
        .value_kind:     hidden_group_size_x
      - .offset:         46
        .size:           2
        .value_kind:     hidden_group_size_y
      - .offset:         48
        .size:           2
        .value_kind:     hidden_group_size_z
      - .offset:         50
        .size:           2
        .value_kind:     hidden_remainder_x
      - .offset:         52
        .size:           2
        .value_kind:     hidden_remainder_y
      - .offset:         54
        .size:           2
        .value_kind:     hidden_remainder_z
      - .offset:         72
        .size:           8
        .value_kind:     hidden_global_offset_x
      - .offset:         80
        .size:           8
        .value_kind:     hidden_global_offset_y
      - .offset:         88
        .size:           8
        .value_kind:     hidden_global_offset_z
      - .offset:         96
        .size:           2
        .value_kind:     hidden_grid_dims
    .group_segment_fixed_size: 0
    .kernarg_segment_align: 8
    .kernarg_segment_size: 288
    .language:       OpenCL C
    .language_version:
      - 2
      - 0
    .max_flat_workgroup_size: 512
    .name:           _ZN9rocsparseL25kernel_set_permuted_arrayILj512E21rocsparse_complex_numIfEiEEvT1_PT0_PKS4_PKS3_
    .private_segment_fixed_size: 0
    .sgpr_count:     12
    .sgpr_spill_count: 0
    .symbol:         _ZN9rocsparseL25kernel_set_permuted_arrayILj512E21rocsparse_complex_numIfEiEEvT1_PT0_PKS4_PKS3_.kd
    .uniform_work_group_size: 1
    .uses_dynamic_stack: false
    .vgpr_count:     5
    .vgpr_spill_count: 0
    .wavefront_size: 64
  - .agpr_count:     0
    .args:
      - .offset:         0
        .size:           4
        .value_kind:     by_value
      - .address_space:  global
        .offset:         8
        .size:           8
        .value_kind:     global_buffer
      - .offset:         16
        .size:           4
        .value_kind:     hidden_block_count_x
      - .offset:         20
        .size:           4
        .value_kind:     hidden_block_count_y
      - .offset:         24
        .size:           4
        .value_kind:     hidden_block_count_z
      - .offset:         28
        .size:           2
        .value_kind:     hidden_group_size_x
      - .offset:         30
        .size:           2
        .value_kind:     hidden_group_size_y
      - .offset:         32
        .size:           2
        .value_kind:     hidden_group_size_z
      - .offset:         34
        .size:           2
        .value_kind:     hidden_remainder_x
      - .offset:         36
        .size:           2
        .value_kind:     hidden_remainder_y
      - .offset:         38
        .size:           2
        .value_kind:     hidden_remainder_z
      - .offset:         56
        .size:           8
        .value_kind:     hidden_global_offset_x
      - .offset:         64
        .size:           8
        .value_kind:     hidden_global_offset_y
      - .offset:         72
        .size:           8
        .value_kind:     hidden_global_offset_z
      - .offset:         80
        .size:           2
        .value_kind:     hidden_grid_dims
    .group_segment_fixed_size: 0
    .kernarg_segment_align: 8
    .kernarg_segment_size: 272
    .language:       OpenCL C
    .language_version:
      - 2
      - 0
    .max_flat_workgroup_size: 512
    .name:           _ZN9rocsparseL25kernel_set_identity_arrayILj512E21rocsparse_complex_numIdEiEEvT1_PT0_
    .private_segment_fixed_size: 0
    .sgpr_count:     11
    .sgpr_spill_count: 0
    .symbol:         _ZN9rocsparseL25kernel_set_identity_arrayILj512E21rocsparse_complex_numIdEiEEvT1_PT0_.kd
    .uniform_work_group_size: 1
    .uses_dynamic_stack: false
    .vgpr_count:     6
    .vgpr_spill_count: 0
    .wavefront_size: 64
  - .agpr_count:     0
    .args:
      - .offset:         0
        .size:           4
        .value_kind:     by_value
      - .address_space:  global
        .offset:         8
        .size:           8
        .value_kind:     global_buffer
      - .address_space:  global
        .offset:         16
        .size:           8
        .value_kind:     global_buffer
      - .address_space:  global
        .offset:         24
        .size:           8
        .value_kind:     global_buffer
      - .offset:         32
        .size:           4
        .value_kind:     hidden_block_count_x
      - .offset:         36
        .size:           4
        .value_kind:     hidden_block_count_y
      - .offset:         40
        .size:           4
        .value_kind:     hidden_block_count_z
      - .offset:         44
        .size:           2
        .value_kind:     hidden_group_size_x
      - .offset:         46
        .size:           2
        .value_kind:     hidden_group_size_y
      - .offset:         48
        .size:           2
        .value_kind:     hidden_group_size_z
      - .offset:         50
        .size:           2
        .value_kind:     hidden_remainder_x
      - .offset:         52
        .size:           2
        .value_kind:     hidden_remainder_y
      - .offset:         54
        .size:           2
        .value_kind:     hidden_remainder_z
      - .offset:         72
        .size:           8
        .value_kind:     hidden_global_offset_x
      - .offset:         80
        .size:           8
        .value_kind:     hidden_global_offset_y
      - .offset:         88
        .size:           8
        .value_kind:     hidden_global_offset_z
      - .offset:         96
        .size:           2
        .value_kind:     hidden_grid_dims
    .group_segment_fixed_size: 0
    .kernarg_segment_align: 8
    .kernarg_segment_size: 288
    .language:       OpenCL C
    .language_version:
      - 2
      - 0
    .max_flat_workgroup_size: 512
    .name:           _ZN9rocsparseL25kernel_get_permuted_arrayILj512E21rocsparse_complex_numIdEiEEvT1_PKT0_PS4_PKS3_
    .private_segment_fixed_size: 0
    .sgpr_count:     11
    .sgpr_spill_count: 0
    .symbol:         _ZN9rocsparseL25kernel_get_permuted_arrayILj512E21rocsparse_complex_numIdEiEEvT1_PKT0_PS4_PKS3_.kd
    .uniform_work_group_size: 1
    .uses_dynamic_stack: false
    .vgpr_count:     7
    .vgpr_spill_count: 0
    .wavefront_size: 64
  - .agpr_count:     0
    .args:
      - .offset:         0
        .size:           4
        .value_kind:     by_value
      - .address_space:  global
        .offset:         8
        .size:           8
        .value_kind:     global_buffer
      - .address_space:  global
        .offset:         16
        .size:           8
        .value_kind:     global_buffer
      - .address_space:  global
        .offset:         24
        .size:           8
        .value_kind:     global_buffer
      - .offset:         32
        .size:           4
        .value_kind:     hidden_block_count_x
      - .offset:         36
        .size:           4
        .value_kind:     hidden_block_count_y
      - .offset:         40
        .size:           4
        .value_kind:     hidden_block_count_z
      - .offset:         44
        .size:           2
        .value_kind:     hidden_group_size_x
      - .offset:         46
        .size:           2
        .value_kind:     hidden_group_size_y
      - .offset:         48
        .size:           2
        .value_kind:     hidden_group_size_z
      - .offset:         50
        .size:           2
        .value_kind:     hidden_remainder_x
      - .offset:         52
        .size:           2
        .value_kind:     hidden_remainder_y
      - .offset:         54
        .size:           2
        .value_kind:     hidden_remainder_z
      - .offset:         72
        .size:           8
        .value_kind:     hidden_global_offset_x
      - .offset:         80
        .size:           8
        .value_kind:     hidden_global_offset_y
      - .offset:         88
        .size:           8
        .value_kind:     hidden_global_offset_z
      - .offset:         96
        .size:           2
        .value_kind:     hidden_grid_dims
    .group_segment_fixed_size: 0
    .kernarg_segment_align: 8
    .kernarg_segment_size: 288
    .language:       OpenCL C
    .language_version:
      - 2
      - 0
    .max_flat_workgroup_size: 512
    .name:           _ZN9rocsparseL25kernel_set_permuted_arrayILj512E21rocsparse_complex_numIdEiEEvT1_PT0_PKS4_PKS3_
    .private_segment_fixed_size: 0
    .sgpr_count:     12
    .sgpr_spill_count: 0
    .symbol:         _ZN9rocsparseL25kernel_set_permuted_arrayILj512E21rocsparse_complex_numIdEiEEvT1_PT0_PKS4_PKS3_.kd
    .uniform_work_group_size: 1
    .uses_dynamic_stack: false
    .vgpr_count:     7
    .vgpr_spill_count: 0
    .wavefront_size: 64
  - .agpr_count:     0
    .args:
      - .offset:         0
        .size:           8
        .value_kind:     by_value
      - .address_space:  global
        .offset:         8
        .size:           8
        .value_kind:     global_buffer
      - .offset:         16
        .size:           4
        .value_kind:     hidden_block_count_x
      - .offset:         20
        .size:           4
        .value_kind:     hidden_block_count_y
      - .offset:         24
        .size:           4
        .value_kind:     hidden_block_count_z
      - .offset:         28
        .size:           2
        .value_kind:     hidden_group_size_x
      - .offset:         30
        .size:           2
        .value_kind:     hidden_group_size_y
      - .offset:         32
        .size:           2
        .value_kind:     hidden_group_size_z
      - .offset:         34
        .size:           2
        .value_kind:     hidden_remainder_x
      - .offset:         36
        .size:           2
        .value_kind:     hidden_remainder_y
      - .offset:         38
        .size:           2
        .value_kind:     hidden_remainder_z
      - .offset:         56
        .size:           8
        .value_kind:     hidden_global_offset_x
      - .offset:         64
        .size:           8
        .value_kind:     hidden_global_offset_y
      - .offset:         72
        .size:           8
        .value_kind:     hidden_global_offset_z
      - .offset:         80
        .size:           2
        .value_kind:     hidden_grid_dims
    .group_segment_fixed_size: 0
    .kernarg_segment_align: 8
    .kernarg_segment_size: 272
    .language:       OpenCL C
    .language_version:
      - 2
      - 0
    .max_flat_workgroup_size: 1024
    .name:           _ZN9rocsparseL25kernel_set_identity_arrayILj1024EllEEvT1_PT0_
    .private_segment_fixed_size: 0
    .sgpr_count:     12
    .sgpr_spill_count: 0
    .symbol:         _ZN9rocsparseL25kernel_set_identity_arrayILj1024EllEEvT1_PT0_.kd
    .uniform_work_group_size: 1
    .uses_dynamic_stack: false
    .vgpr_count:     4
    .vgpr_spill_count: 0
    .wavefront_size: 64
  - .agpr_count:     0
    .args:
      - .offset:         0
        .size:           8
        .value_kind:     by_value
      - .address_space:  global
        .offset:         8
        .size:           8
        .value_kind:     global_buffer
      - .address_space:  global
        .offset:         16
        .size:           8
        .value_kind:     global_buffer
      - .address_space:  global
        .offset:         24
        .size:           8
        .value_kind:     global_buffer
      - .offset:         32
        .size:           4
        .value_kind:     hidden_block_count_x
      - .offset:         36
        .size:           4
        .value_kind:     hidden_block_count_y
      - .offset:         40
        .size:           4
        .value_kind:     hidden_block_count_z
      - .offset:         44
        .size:           2
        .value_kind:     hidden_group_size_x
      - .offset:         46
        .size:           2
        .value_kind:     hidden_group_size_y
      - .offset:         48
        .size:           2
        .value_kind:     hidden_group_size_z
      - .offset:         50
        .size:           2
        .value_kind:     hidden_remainder_x
      - .offset:         52
        .size:           2
        .value_kind:     hidden_remainder_y
      - .offset:         54
        .size:           2
        .value_kind:     hidden_remainder_z
      - .offset:         72
        .size:           8
        .value_kind:     hidden_global_offset_x
      - .offset:         80
        .size:           8
        .value_kind:     hidden_global_offset_y
      - .offset:         88
        .size:           8
        .value_kind:     hidden_global_offset_z
      - .offset:         96
        .size:           2
        .value_kind:     hidden_grid_dims
    .group_segment_fixed_size: 0
    .kernarg_segment_align: 8
    .kernarg_segment_size: 288
    .language:       OpenCL C
    .language_version:
      - 2
      - 0
    .max_flat_workgroup_size: 1024
    .name:           _ZN9rocsparseL25kernel_get_permuted_arrayILj1024EllEEvT1_PKT0_PS2_PKS1_
    .private_segment_fixed_size: 0
    .sgpr_count:     20
    .sgpr_spill_count: 0
    .symbol:         _ZN9rocsparseL25kernel_get_permuted_arrayILj1024EllEEvT1_PKT0_PS2_PKS1_.kd
    .uniform_work_group_size: 1
    .uses_dynamic_stack: false
    .vgpr_count:     5
    .vgpr_spill_count: 0
    .wavefront_size: 64
  - .agpr_count:     0
    .args:
      - .offset:         0
        .size:           8
        .value_kind:     by_value
      - .address_space:  global
        .offset:         8
        .size:           8
        .value_kind:     global_buffer
      - .address_space:  global
        .offset:         16
        .size:           8
        .value_kind:     global_buffer
      - .address_space:  global
        .offset:         24
        .size:           8
        .value_kind:     global_buffer
      - .offset:         32
        .size:           4
        .value_kind:     hidden_block_count_x
      - .offset:         36
        .size:           4
        .value_kind:     hidden_block_count_y
      - .offset:         40
        .size:           4
        .value_kind:     hidden_block_count_z
      - .offset:         44
        .size:           2
        .value_kind:     hidden_group_size_x
      - .offset:         46
        .size:           2
        .value_kind:     hidden_group_size_y
      - .offset:         48
        .size:           2
        .value_kind:     hidden_group_size_z
      - .offset:         50
        .size:           2
        .value_kind:     hidden_remainder_x
      - .offset:         52
        .size:           2
        .value_kind:     hidden_remainder_y
      - .offset:         54
        .size:           2
        .value_kind:     hidden_remainder_z
      - .offset:         72
        .size:           8
        .value_kind:     hidden_global_offset_x
      - .offset:         80
        .size:           8
        .value_kind:     hidden_global_offset_y
      - .offset:         88
        .size:           8
        .value_kind:     hidden_global_offset_z
      - .offset:         96
        .size:           2
        .value_kind:     hidden_grid_dims
    .group_segment_fixed_size: 0
    .kernarg_segment_align: 8
    .kernarg_segment_size: 288
    .language:       OpenCL C
    .language_version:
      - 2
      - 0
    .max_flat_workgroup_size: 1024
    .name:           _ZN9rocsparseL25kernel_set_permuted_arrayILj1024EllEEvT1_PT0_PKS2_PKS1_
    .private_segment_fixed_size: 0
    .sgpr_count:     20
    .sgpr_spill_count: 0
    .symbol:         _ZN9rocsparseL25kernel_set_permuted_arrayILj1024EllEEvT1_PT0_PKS2_PKS1_.kd
    .uniform_work_group_size: 1
    .uses_dynamic_stack: false
    .vgpr_count:     5
    .vgpr_spill_count: 0
    .wavefront_size: 64
  - .agpr_count:     0
    .args:
      - .offset:         0
        .size:           8
        .value_kind:     by_value
      - .address_space:  global
        .offset:         8
        .size:           8
        .value_kind:     global_buffer
      - .offset:         16
        .size:           4
        .value_kind:     hidden_block_count_x
      - .offset:         20
        .size:           4
        .value_kind:     hidden_block_count_y
      - .offset:         24
        .size:           4
        .value_kind:     hidden_block_count_z
      - .offset:         28
        .size:           2
        .value_kind:     hidden_group_size_x
      - .offset:         30
        .size:           2
        .value_kind:     hidden_group_size_y
      - .offset:         32
        .size:           2
        .value_kind:     hidden_group_size_z
      - .offset:         34
        .size:           2
        .value_kind:     hidden_remainder_x
      - .offset:         36
        .size:           2
        .value_kind:     hidden_remainder_y
      - .offset:         38
        .size:           2
        .value_kind:     hidden_remainder_z
      - .offset:         56
        .size:           8
        .value_kind:     hidden_global_offset_x
      - .offset:         64
        .size:           8
        .value_kind:     hidden_global_offset_y
      - .offset:         72
        .size:           8
        .value_kind:     hidden_global_offset_z
      - .offset:         80
        .size:           2
        .value_kind:     hidden_grid_dims
    .group_segment_fixed_size: 0
    .kernarg_segment_align: 8
    .kernarg_segment_size: 272
    .language:       OpenCL C
    .language_version:
      - 2
      - 0
    .max_flat_workgroup_size: 1024
    .name:           _ZN9rocsparseL25kernel_set_identity_arrayILj1024EflEEvT1_PT0_
    .private_segment_fixed_size: 0
    .sgpr_count:     12
    .sgpr_spill_count: 0
    .symbol:         _ZN9rocsparseL25kernel_set_identity_arrayILj1024EflEEvT1_PT0_.kd
    .uniform_work_group_size: 1
    .uses_dynamic_stack: false
    .vgpr_count:     3
    .vgpr_spill_count: 0
    .wavefront_size: 64
  - .agpr_count:     0
    .args:
      - .offset:         0
        .size:           8
        .value_kind:     by_value
      - .address_space:  global
        .offset:         8
        .size:           8
        .value_kind:     global_buffer
      - .address_space:  global
        .offset:         16
        .size:           8
        .value_kind:     global_buffer
      - .address_space:  global
        .offset:         24
        .size:           8
        .value_kind:     global_buffer
      - .offset:         32
        .size:           4
        .value_kind:     hidden_block_count_x
      - .offset:         36
        .size:           4
        .value_kind:     hidden_block_count_y
      - .offset:         40
        .size:           4
        .value_kind:     hidden_block_count_z
      - .offset:         44
        .size:           2
        .value_kind:     hidden_group_size_x
      - .offset:         46
        .size:           2
        .value_kind:     hidden_group_size_y
      - .offset:         48
        .size:           2
        .value_kind:     hidden_group_size_z
      - .offset:         50
        .size:           2
        .value_kind:     hidden_remainder_x
      - .offset:         52
        .size:           2
        .value_kind:     hidden_remainder_y
      - .offset:         54
        .size:           2
        .value_kind:     hidden_remainder_z
      - .offset:         72
        .size:           8
        .value_kind:     hidden_global_offset_x
      - .offset:         80
        .size:           8
        .value_kind:     hidden_global_offset_y
      - .offset:         88
        .size:           8
        .value_kind:     hidden_global_offset_z
      - .offset:         96
        .size:           2
        .value_kind:     hidden_grid_dims
    .group_segment_fixed_size: 0
    .kernarg_segment_align: 8
    .kernarg_segment_size: 288
    .language:       OpenCL C
    .language_version:
      - 2
      - 0
    .max_flat_workgroup_size: 1024
    .name:           _ZN9rocsparseL25kernel_get_permuted_arrayILj1024EflEEvT1_PKT0_PS2_PKS1_
    .private_segment_fixed_size: 0
    .sgpr_count:     20
    .sgpr_spill_count: 0
    .symbol:         _ZN9rocsparseL25kernel_get_permuted_arrayILj1024EflEEvT1_PKT0_PS2_PKS1_.kd
    .uniform_work_group_size: 1
    .uses_dynamic_stack: false
    .vgpr_count:     5
    .vgpr_spill_count: 0
    .wavefront_size: 64
  - .agpr_count:     0
    .args:
      - .offset:         0
        .size:           8
        .value_kind:     by_value
      - .address_space:  global
        .offset:         8
        .size:           8
        .value_kind:     global_buffer
      - .address_space:  global
        .offset:         16
        .size:           8
        .value_kind:     global_buffer
      - .address_space:  global
        .offset:         24
        .size:           8
        .value_kind:     global_buffer
      - .offset:         32
        .size:           4
        .value_kind:     hidden_block_count_x
      - .offset:         36
        .size:           4
        .value_kind:     hidden_block_count_y
      - .offset:         40
        .size:           4
        .value_kind:     hidden_block_count_z
      - .offset:         44
        .size:           2
        .value_kind:     hidden_group_size_x
      - .offset:         46
        .size:           2
        .value_kind:     hidden_group_size_y
      - .offset:         48
        .size:           2
        .value_kind:     hidden_group_size_z
      - .offset:         50
        .size:           2
        .value_kind:     hidden_remainder_x
      - .offset:         52
        .size:           2
        .value_kind:     hidden_remainder_y
      - .offset:         54
        .size:           2
        .value_kind:     hidden_remainder_z
      - .offset:         72
        .size:           8
        .value_kind:     hidden_global_offset_x
      - .offset:         80
        .size:           8
        .value_kind:     hidden_global_offset_y
      - .offset:         88
        .size:           8
        .value_kind:     hidden_global_offset_z
      - .offset:         96
        .size:           2
        .value_kind:     hidden_grid_dims
    .group_segment_fixed_size: 0
    .kernarg_segment_align: 8
    .kernarg_segment_size: 288
    .language:       OpenCL C
    .language_version:
      - 2
      - 0
    .max_flat_workgroup_size: 1024
    .name:           _ZN9rocsparseL25kernel_set_permuted_arrayILj1024EflEEvT1_PT0_PKS2_PKS1_
    .private_segment_fixed_size: 0
    .sgpr_count:     20
    .sgpr_spill_count: 0
    .symbol:         _ZN9rocsparseL25kernel_set_permuted_arrayILj1024EflEEvT1_PT0_PKS2_PKS1_.kd
    .uniform_work_group_size: 1
    .uses_dynamic_stack: false
    .vgpr_count:     6
    .vgpr_spill_count: 0
    .wavefront_size: 64
  - .agpr_count:     0
    .args:
      - .offset:         0
        .size:           8
        .value_kind:     by_value
      - .address_space:  global
        .offset:         8
        .size:           8
        .value_kind:     global_buffer
      - .offset:         16
        .size:           4
        .value_kind:     hidden_block_count_x
      - .offset:         20
        .size:           4
        .value_kind:     hidden_block_count_y
      - .offset:         24
        .size:           4
        .value_kind:     hidden_block_count_z
      - .offset:         28
        .size:           2
        .value_kind:     hidden_group_size_x
      - .offset:         30
        .size:           2
        .value_kind:     hidden_group_size_y
      - .offset:         32
        .size:           2
        .value_kind:     hidden_group_size_z
      - .offset:         34
        .size:           2
        .value_kind:     hidden_remainder_x
      - .offset:         36
        .size:           2
        .value_kind:     hidden_remainder_y
      - .offset:         38
        .size:           2
        .value_kind:     hidden_remainder_z
      - .offset:         56
        .size:           8
        .value_kind:     hidden_global_offset_x
      - .offset:         64
        .size:           8
        .value_kind:     hidden_global_offset_y
      - .offset:         72
        .size:           8
        .value_kind:     hidden_global_offset_z
      - .offset:         80
        .size:           2
        .value_kind:     hidden_grid_dims
    .group_segment_fixed_size: 0
    .kernarg_segment_align: 8
    .kernarg_segment_size: 272
    .language:       OpenCL C
    .language_version:
      - 2
      - 0
    .max_flat_workgroup_size: 1024
    .name:           _ZN9rocsparseL25kernel_set_identity_arrayILj1024EdlEEvT1_PT0_
    .private_segment_fixed_size: 0
    .sgpr_count:     12
    .sgpr_spill_count: 0
    .symbol:         _ZN9rocsparseL25kernel_set_identity_arrayILj1024EdlEEvT1_PT0_.kd
    .uniform_work_group_size: 1
    .uses_dynamic_stack: false
    .vgpr_count:     6
    .vgpr_spill_count: 0
    .wavefront_size: 64
  - .agpr_count:     0
    .args:
      - .offset:         0
        .size:           8
        .value_kind:     by_value
      - .address_space:  global
        .offset:         8
        .size:           8
        .value_kind:     global_buffer
      - .address_space:  global
        .offset:         16
        .size:           8
        .value_kind:     global_buffer
      - .address_space:  global
        .offset:         24
        .size:           8
        .value_kind:     global_buffer
      - .offset:         32
        .size:           4
        .value_kind:     hidden_block_count_x
      - .offset:         36
        .size:           4
        .value_kind:     hidden_block_count_y
      - .offset:         40
        .size:           4
        .value_kind:     hidden_block_count_z
      - .offset:         44
        .size:           2
        .value_kind:     hidden_group_size_x
      - .offset:         46
        .size:           2
        .value_kind:     hidden_group_size_y
      - .offset:         48
        .size:           2
        .value_kind:     hidden_group_size_z
      - .offset:         50
        .size:           2
        .value_kind:     hidden_remainder_x
      - .offset:         52
        .size:           2
        .value_kind:     hidden_remainder_y
      - .offset:         54
        .size:           2
        .value_kind:     hidden_remainder_z
      - .offset:         72
        .size:           8
        .value_kind:     hidden_global_offset_x
      - .offset:         80
        .size:           8
        .value_kind:     hidden_global_offset_y
      - .offset:         88
        .size:           8
        .value_kind:     hidden_global_offset_z
      - .offset:         96
        .size:           2
        .value_kind:     hidden_grid_dims
    .group_segment_fixed_size: 0
    .kernarg_segment_align: 8
    .kernarg_segment_size: 288
    .language:       OpenCL C
    .language_version:
      - 2
      - 0
    .max_flat_workgroup_size: 1024
    .name:           _ZN9rocsparseL25kernel_get_permuted_arrayILj1024EdlEEvT1_PKT0_PS2_PKS1_
    .private_segment_fixed_size: 0
    .sgpr_count:     20
    .sgpr_spill_count: 0
    .symbol:         _ZN9rocsparseL25kernel_get_permuted_arrayILj1024EdlEEvT1_PKT0_PS2_PKS1_.kd
    .uniform_work_group_size: 1
    .uses_dynamic_stack: false
    .vgpr_count:     5
    .vgpr_spill_count: 0
    .wavefront_size: 64
  - .agpr_count:     0
    .args:
      - .offset:         0
        .size:           8
        .value_kind:     by_value
      - .address_space:  global
        .offset:         8
        .size:           8
        .value_kind:     global_buffer
      - .address_space:  global
        .offset:         16
        .size:           8
        .value_kind:     global_buffer
      - .address_space:  global
        .offset:         24
        .size:           8
        .value_kind:     global_buffer
      - .offset:         32
        .size:           4
        .value_kind:     hidden_block_count_x
      - .offset:         36
        .size:           4
        .value_kind:     hidden_block_count_y
      - .offset:         40
        .size:           4
        .value_kind:     hidden_block_count_z
      - .offset:         44
        .size:           2
        .value_kind:     hidden_group_size_x
      - .offset:         46
        .size:           2
        .value_kind:     hidden_group_size_y
      - .offset:         48
        .size:           2
        .value_kind:     hidden_group_size_z
      - .offset:         50
        .size:           2
        .value_kind:     hidden_remainder_x
      - .offset:         52
        .size:           2
        .value_kind:     hidden_remainder_y
      - .offset:         54
        .size:           2
        .value_kind:     hidden_remainder_z
      - .offset:         72
        .size:           8
        .value_kind:     hidden_global_offset_x
      - .offset:         80
        .size:           8
        .value_kind:     hidden_global_offset_y
      - .offset:         88
        .size:           8
        .value_kind:     hidden_global_offset_z
      - .offset:         96
        .size:           2
        .value_kind:     hidden_grid_dims
    .group_segment_fixed_size: 0
    .kernarg_segment_align: 8
    .kernarg_segment_size: 288
    .language:       OpenCL C
    .language_version:
      - 2
      - 0
    .max_flat_workgroup_size: 1024
    .name:           _ZN9rocsparseL25kernel_set_permuted_arrayILj1024EdlEEvT1_PT0_PKS2_PKS1_
    .private_segment_fixed_size: 0
    .sgpr_count:     20
    .sgpr_spill_count: 0
    .symbol:         _ZN9rocsparseL25kernel_set_permuted_arrayILj1024EdlEEvT1_PT0_PKS2_PKS1_.kd
    .uniform_work_group_size: 1
    .uses_dynamic_stack: false
    .vgpr_count:     5
    .vgpr_spill_count: 0
    .wavefront_size: 64
  - .agpr_count:     0
    .args:
      - .offset:         0
        .size:           8
        .value_kind:     by_value
      - .address_space:  global
        .offset:         8
        .size:           8
        .value_kind:     global_buffer
      - .offset:         16
        .size:           4
        .value_kind:     hidden_block_count_x
      - .offset:         20
        .size:           4
        .value_kind:     hidden_block_count_y
      - .offset:         24
        .size:           4
        .value_kind:     hidden_block_count_z
      - .offset:         28
        .size:           2
        .value_kind:     hidden_group_size_x
      - .offset:         30
        .size:           2
        .value_kind:     hidden_group_size_y
      - .offset:         32
        .size:           2
        .value_kind:     hidden_group_size_z
      - .offset:         34
        .size:           2
        .value_kind:     hidden_remainder_x
      - .offset:         36
        .size:           2
        .value_kind:     hidden_remainder_y
      - .offset:         38
        .size:           2
        .value_kind:     hidden_remainder_z
      - .offset:         56
        .size:           8
        .value_kind:     hidden_global_offset_x
      - .offset:         64
        .size:           8
        .value_kind:     hidden_global_offset_y
      - .offset:         72
        .size:           8
        .value_kind:     hidden_global_offset_z
      - .offset:         80
        .size:           2
        .value_kind:     hidden_grid_dims
    .group_segment_fixed_size: 0
    .kernarg_segment_align: 8
    .kernarg_segment_size: 272
    .language:       OpenCL C
    .language_version:
      - 2
      - 0
    .max_flat_workgroup_size: 1024
    .name:           _ZN9rocsparseL25kernel_set_identity_arrayILj1024E21rocsparse_complex_numIfElEEvT1_PT0_
    .private_segment_fixed_size: 0
    .sgpr_count:     12
    .sgpr_spill_count: 0
    .symbol:         _ZN9rocsparseL25kernel_set_identity_arrayILj1024E21rocsparse_complex_numIfElEEvT1_PT0_.kd
    .uniform_work_group_size: 1
    .uses_dynamic_stack: false
    .vgpr_count:     4
    .vgpr_spill_count: 0
    .wavefront_size: 64
  - .agpr_count:     0
    .args:
      - .offset:         0
        .size:           8
        .value_kind:     by_value
      - .address_space:  global
        .offset:         8
        .size:           8
        .value_kind:     global_buffer
      - .address_space:  global
        .offset:         16
        .size:           8
        .value_kind:     global_buffer
      - .address_space:  global
        .offset:         24
        .size:           8
        .value_kind:     global_buffer
      - .offset:         32
        .size:           4
        .value_kind:     hidden_block_count_x
      - .offset:         36
        .size:           4
        .value_kind:     hidden_block_count_y
      - .offset:         40
        .size:           4
        .value_kind:     hidden_block_count_z
      - .offset:         44
        .size:           2
        .value_kind:     hidden_group_size_x
      - .offset:         46
        .size:           2
        .value_kind:     hidden_group_size_y
      - .offset:         48
        .size:           2
        .value_kind:     hidden_group_size_z
      - .offset:         50
        .size:           2
        .value_kind:     hidden_remainder_x
      - .offset:         52
        .size:           2
        .value_kind:     hidden_remainder_y
      - .offset:         54
        .size:           2
        .value_kind:     hidden_remainder_z
      - .offset:         72
        .size:           8
        .value_kind:     hidden_global_offset_x
      - .offset:         80
        .size:           8
        .value_kind:     hidden_global_offset_y
      - .offset:         88
        .size:           8
        .value_kind:     hidden_global_offset_z
      - .offset:         96
        .size:           2
        .value_kind:     hidden_grid_dims
    .group_segment_fixed_size: 0
    .kernarg_segment_align: 8
    .kernarg_segment_size: 288
    .language:       OpenCL C
    .language_version:
      - 2
      - 0
    .max_flat_workgroup_size: 1024
    .name:           _ZN9rocsparseL25kernel_get_permuted_arrayILj1024E21rocsparse_complex_numIfElEEvT1_PKT0_PS4_PKS3_
    .private_segment_fixed_size: 0
    .sgpr_count:     20
    .sgpr_spill_count: 0
    .symbol:         _ZN9rocsparseL25kernel_get_permuted_arrayILj1024E21rocsparse_complex_numIfElEEvT1_PKT0_PS4_PKS3_.kd
    .uniform_work_group_size: 1
    .uses_dynamic_stack: false
    .vgpr_count:     5
    .vgpr_spill_count: 0
    .wavefront_size: 64
  - .agpr_count:     0
    .args:
      - .offset:         0
        .size:           8
        .value_kind:     by_value
      - .address_space:  global
        .offset:         8
        .size:           8
        .value_kind:     global_buffer
      - .address_space:  global
        .offset:         16
        .size:           8
        .value_kind:     global_buffer
      - .address_space:  global
        .offset:         24
        .size:           8
        .value_kind:     global_buffer
      - .offset:         32
        .size:           4
        .value_kind:     hidden_block_count_x
      - .offset:         36
        .size:           4
        .value_kind:     hidden_block_count_y
      - .offset:         40
        .size:           4
        .value_kind:     hidden_block_count_z
      - .offset:         44
        .size:           2
        .value_kind:     hidden_group_size_x
      - .offset:         46
        .size:           2
        .value_kind:     hidden_group_size_y
      - .offset:         48
        .size:           2
        .value_kind:     hidden_group_size_z
      - .offset:         50
        .size:           2
        .value_kind:     hidden_remainder_x
      - .offset:         52
        .size:           2
        .value_kind:     hidden_remainder_y
      - .offset:         54
        .size:           2
        .value_kind:     hidden_remainder_z
      - .offset:         72
        .size:           8
        .value_kind:     hidden_global_offset_x
      - .offset:         80
        .size:           8
        .value_kind:     hidden_global_offset_y
      - .offset:         88
        .size:           8
        .value_kind:     hidden_global_offset_z
      - .offset:         96
        .size:           2
        .value_kind:     hidden_grid_dims
    .group_segment_fixed_size: 0
    .kernarg_segment_align: 8
    .kernarg_segment_size: 288
    .language:       OpenCL C
    .language_version:
      - 2
      - 0
    .max_flat_workgroup_size: 1024
    .name:           _ZN9rocsparseL25kernel_set_permuted_arrayILj1024E21rocsparse_complex_numIfElEEvT1_PT0_PKS4_PKS3_
    .private_segment_fixed_size: 0
    .sgpr_count:     20
    .sgpr_spill_count: 0
    .symbol:         _ZN9rocsparseL25kernel_set_permuted_arrayILj1024E21rocsparse_complex_numIfElEEvT1_PT0_PKS4_PKS3_.kd
    .uniform_work_group_size: 1
    .uses_dynamic_stack: false
    .vgpr_count:     5
    .vgpr_spill_count: 0
    .wavefront_size: 64
  - .agpr_count:     0
    .args:
      - .offset:         0
        .size:           8
        .value_kind:     by_value
      - .address_space:  global
        .offset:         8
        .size:           8
        .value_kind:     global_buffer
      - .offset:         16
        .size:           4
        .value_kind:     hidden_block_count_x
      - .offset:         20
        .size:           4
        .value_kind:     hidden_block_count_y
      - .offset:         24
        .size:           4
        .value_kind:     hidden_block_count_z
      - .offset:         28
        .size:           2
        .value_kind:     hidden_group_size_x
      - .offset:         30
        .size:           2
        .value_kind:     hidden_group_size_y
      - .offset:         32
        .size:           2
        .value_kind:     hidden_group_size_z
      - .offset:         34
        .size:           2
        .value_kind:     hidden_remainder_x
      - .offset:         36
        .size:           2
        .value_kind:     hidden_remainder_y
      - .offset:         38
        .size:           2
        .value_kind:     hidden_remainder_z
      - .offset:         56
        .size:           8
        .value_kind:     hidden_global_offset_x
      - .offset:         64
        .size:           8
        .value_kind:     hidden_global_offset_y
      - .offset:         72
        .size:           8
        .value_kind:     hidden_global_offset_z
      - .offset:         80
        .size:           2
        .value_kind:     hidden_grid_dims
    .group_segment_fixed_size: 0
    .kernarg_segment_align: 8
    .kernarg_segment_size: 272
    .language:       OpenCL C
    .language_version:
      - 2
      - 0
    .max_flat_workgroup_size: 1024
    .name:           _ZN9rocsparseL25kernel_set_identity_arrayILj1024E21rocsparse_complex_numIdElEEvT1_PT0_
    .private_segment_fixed_size: 0
    .sgpr_count:     12
    .sgpr_spill_count: 0
    .symbol:         _ZN9rocsparseL25kernel_set_identity_arrayILj1024E21rocsparse_complex_numIdElEEvT1_PT0_.kd
    .uniform_work_group_size: 1
    .uses_dynamic_stack: false
    .vgpr_count:     6
    .vgpr_spill_count: 0
    .wavefront_size: 64
  - .agpr_count:     0
    .args:
      - .offset:         0
        .size:           8
        .value_kind:     by_value
      - .address_space:  global
        .offset:         8
        .size:           8
        .value_kind:     global_buffer
      - .address_space:  global
        .offset:         16
        .size:           8
        .value_kind:     global_buffer
      - .address_space:  global
        .offset:         24
        .size:           8
        .value_kind:     global_buffer
      - .offset:         32
        .size:           4
        .value_kind:     hidden_block_count_x
      - .offset:         36
        .size:           4
        .value_kind:     hidden_block_count_y
      - .offset:         40
        .size:           4
        .value_kind:     hidden_block_count_z
      - .offset:         44
        .size:           2
        .value_kind:     hidden_group_size_x
      - .offset:         46
        .size:           2
        .value_kind:     hidden_group_size_y
      - .offset:         48
        .size:           2
        .value_kind:     hidden_group_size_z
      - .offset:         50
        .size:           2
        .value_kind:     hidden_remainder_x
      - .offset:         52
        .size:           2
        .value_kind:     hidden_remainder_y
      - .offset:         54
        .size:           2
        .value_kind:     hidden_remainder_z
      - .offset:         72
        .size:           8
        .value_kind:     hidden_global_offset_x
      - .offset:         80
        .size:           8
        .value_kind:     hidden_global_offset_y
      - .offset:         88
        .size:           8
        .value_kind:     hidden_global_offset_z
      - .offset:         96
        .size:           2
        .value_kind:     hidden_grid_dims
    .group_segment_fixed_size: 0
    .kernarg_segment_align: 8
    .kernarg_segment_size: 288
    .language:       OpenCL C
    .language_version:
      - 2
      - 0
    .max_flat_workgroup_size: 1024
    .name:           _ZN9rocsparseL25kernel_get_permuted_arrayILj1024E21rocsparse_complex_numIdElEEvT1_PKT0_PS4_PKS3_
    .private_segment_fixed_size: 0
    .sgpr_count:     20
    .sgpr_spill_count: 0
    .symbol:         _ZN9rocsparseL25kernel_get_permuted_arrayILj1024E21rocsparse_complex_numIdElEEvT1_PKT0_PS4_PKS3_.kd
    .uniform_work_group_size: 1
    .uses_dynamic_stack: false
    .vgpr_count:     7
    .vgpr_spill_count: 0
    .wavefront_size: 64
  - .agpr_count:     0
    .args:
      - .offset:         0
        .size:           8
        .value_kind:     by_value
      - .address_space:  global
        .offset:         8
        .size:           8
        .value_kind:     global_buffer
      - .address_space:  global
        .offset:         16
        .size:           8
        .value_kind:     global_buffer
      - .address_space:  global
        .offset:         24
        .size:           8
        .value_kind:     global_buffer
      - .offset:         32
        .size:           4
        .value_kind:     hidden_block_count_x
      - .offset:         36
        .size:           4
        .value_kind:     hidden_block_count_y
      - .offset:         40
        .size:           4
        .value_kind:     hidden_block_count_z
      - .offset:         44
        .size:           2
        .value_kind:     hidden_group_size_x
      - .offset:         46
        .size:           2
        .value_kind:     hidden_group_size_y
      - .offset:         48
        .size:           2
        .value_kind:     hidden_group_size_z
      - .offset:         50
        .size:           2
        .value_kind:     hidden_remainder_x
      - .offset:         52
        .size:           2
        .value_kind:     hidden_remainder_y
      - .offset:         54
        .size:           2
        .value_kind:     hidden_remainder_z
      - .offset:         72
        .size:           8
        .value_kind:     hidden_global_offset_x
      - .offset:         80
        .size:           8
        .value_kind:     hidden_global_offset_y
      - .offset:         88
        .size:           8
        .value_kind:     hidden_global_offset_z
      - .offset:         96
        .size:           2
        .value_kind:     hidden_grid_dims
    .group_segment_fixed_size: 0
    .kernarg_segment_align: 8
    .kernarg_segment_size: 288
    .language:       OpenCL C
    .language_version:
      - 2
      - 0
    .max_flat_workgroup_size: 1024
    .name:           _ZN9rocsparseL25kernel_set_permuted_arrayILj1024E21rocsparse_complex_numIdElEEvT1_PT0_PKS4_PKS3_
    .private_segment_fixed_size: 0
    .sgpr_count:     20
    .sgpr_spill_count: 0
    .symbol:         _ZN9rocsparseL25kernel_set_permuted_arrayILj1024E21rocsparse_complex_numIdElEEvT1_PT0_PKS4_PKS3_.kd
    .uniform_work_group_size: 1
    .uses_dynamic_stack: false
    .vgpr_count:     7
    .vgpr_spill_count: 0
    .wavefront_size: 64
  - .agpr_count:     0
    .args:
      - .offset:         0
        .size:           8
        .value_kind:     by_value
      - .address_space:  global
        .offset:         8
        .size:           8
        .value_kind:     global_buffer
      - .offset:         16
        .size:           4
        .value_kind:     hidden_block_count_x
      - .offset:         20
        .size:           4
        .value_kind:     hidden_block_count_y
      - .offset:         24
        .size:           4
        .value_kind:     hidden_block_count_z
      - .offset:         28
        .size:           2
        .value_kind:     hidden_group_size_x
      - .offset:         30
        .size:           2
        .value_kind:     hidden_group_size_y
      - .offset:         32
        .size:           2
        .value_kind:     hidden_group_size_z
      - .offset:         34
        .size:           2
        .value_kind:     hidden_remainder_x
      - .offset:         36
        .size:           2
        .value_kind:     hidden_remainder_y
      - .offset:         38
        .size:           2
        .value_kind:     hidden_remainder_z
      - .offset:         56
        .size:           8
        .value_kind:     hidden_global_offset_x
      - .offset:         64
        .size:           8
        .value_kind:     hidden_global_offset_y
      - .offset:         72
        .size:           8
        .value_kind:     hidden_global_offset_z
      - .offset:         80
        .size:           2
        .value_kind:     hidden_grid_dims
    .group_segment_fixed_size: 0
    .kernarg_segment_align: 8
    .kernarg_segment_size: 272
    .language:       OpenCL C
    .language_version:
      - 2
      - 0
    .max_flat_workgroup_size: 256
    .name:           _ZN9rocsparseL25kernel_set_identity_arrayILj256EflEEvT1_PT0_
    .private_segment_fixed_size: 0
    .sgpr_count:     12
    .sgpr_spill_count: 0
    .symbol:         _ZN9rocsparseL25kernel_set_identity_arrayILj256EflEEvT1_PT0_.kd
    .uniform_work_group_size: 1
    .uses_dynamic_stack: false
    .vgpr_count:     3
    .vgpr_spill_count: 0
    .wavefront_size: 64
  - .agpr_count:     0
    .args:
      - .offset:         0
        .size:           8
        .value_kind:     by_value
      - .address_space:  global
        .offset:         8
        .size:           8
        .value_kind:     global_buffer
      - .address_space:  global
        .offset:         16
        .size:           8
        .value_kind:     global_buffer
      - .address_space:  global
        .offset:         24
        .size:           8
        .value_kind:     global_buffer
      - .offset:         32
        .size:           4
        .value_kind:     hidden_block_count_x
      - .offset:         36
        .size:           4
        .value_kind:     hidden_block_count_y
      - .offset:         40
        .size:           4
        .value_kind:     hidden_block_count_z
      - .offset:         44
        .size:           2
        .value_kind:     hidden_group_size_x
      - .offset:         46
        .size:           2
        .value_kind:     hidden_group_size_y
      - .offset:         48
        .size:           2
        .value_kind:     hidden_group_size_z
      - .offset:         50
        .size:           2
        .value_kind:     hidden_remainder_x
      - .offset:         52
        .size:           2
        .value_kind:     hidden_remainder_y
      - .offset:         54
        .size:           2
        .value_kind:     hidden_remainder_z
      - .offset:         72
        .size:           8
        .value_kind:     hidden_global_offset_x
      - .offset:         80
        .size:           8
        .value_kind:     hidden_global_offset_y
      - .offset:         88
        .size:           8
        .value_kind:     hidden_global_offset_z
      - .offset:         96
        .size:           2
        .value_kind:     hidden_grid_dims
    .group_segment_fixed_size: 0
    .kernarg_segment_align: 8
    .kernarg_segment_size: 288
    .language:       OpenCL C
    .language_version:
      - 2
      - 0
    .max_flat_workgroup_size: 256
    .name:           _ZN9rocsparseL25kernel_get_permuted_arrayILj256EflEEvT1_PKT0_PS2_PKS1_
    .private_segment_fixed_size: 0
    .sgpr_count:     20
    .sgpr_spill_count: 0
    .symbol:         _ZN9rocsparseL25kernel_get_permuted_arrayILj256EflEEvT1_PKT0_PS2_PKS1_.kd
    .uniform_work_group_size: 1
    .uses_dynamic_stack: false
    .vgpr_count:     5
    .vgpr_spill_count: 0
    .wavefront_size: 64
  - .agpr_count:     0
    .args:
      - .offset:         0
        .size:           8
        .value_kind:     by_value
      - .address_space:  global
        .offset:         8
        .size:           8
        .value_kind:     global_buffer
      - .address_space:  global
        .offset:         16
        .size:           8
        .value_kind:     global_buffer
      - .address_space:  global
        .offset:         24
        .size:           8
        .value_kind:     global_buffer
      - .offset:         32
        .size:           4
        .value_kind:     hidden_block_count_x
      - .offset:         36
        .size:           4
        .value_kind:     hidden_block_count_y
      - .offset:         40
        .size:           4
        .value_kind:     hidden_block_count_z
      - .offset:         44
        .size:           2
        .value_kind:     hidden_group_size_x
      - .offset:         46
        .size:           2
        .value_kind:     hidden_group_size_y
      - .offset:         48
        .size:           2
        .value_kind:     hidden_group_size_z
      - .offset:         50
        .size:           2
        .value_kind:     hidden_remainder_x
      - .offset:         52
        .size:           2
        .value_kind:     hidden_remainder_y
      - .offset:         54
        .size:           2
        .value_kind:     hidden_remainder_z
      - .offset:         72
        .size:           8
        .value_kind:     hidden_global_offset_x
      - .offset:         80
        .size:           8
        .value_kind:     hidden_global_offset_y
      - .offset:         88
        .size:           8
        .value_kind:     hidden_global_offset_z
      - .offset:         96
        .size:           2
        .value_kind:     hidden_grid_dims
    .group_segment_fixed_size: 0
    .kernarg_segment_align: 8
    .kernarg_segment_size: 288
    .language:       OpenCL C
    .language_version:
      - 2
      - 0
    .max_flat_workgroup_size: 256
    .name:           _ZN9rocsparseL25kernel_set_permuted_arrayILj256EflEEvT1_PT0_PKS2_PKS1_
    .private_segment_fixed_size: 0
    .sgpr_count:     20
    .sgpr_spill_count: 0
    .symbol:         _ZN9rocsparseL25kernel_set_permuted_arrayILj256EflEEvT1_PT0_PKS2_PKS1_.kd
    .uniform_work_group_size: 1
    .uses_dynamic_stack: false
    .vgpr_count:     6
    .vgpr_spill_count: 0
    .wavefront_size: 64
  - .agpr_count:     0
    .args:
      - .offset:         0
        .size:           8
        .value_kind:     by_value
      - .address_space:  global
        .offset:         8
        .size:           8
        .value_kind:     global_buffer
      - .offset:         16
        .size:           4
        .value_kind:     hidden_block_count_x
      - .offset:         20
        .size:           4
        .value_kind:     hidden_block_count_y
      - .offset:         24
        .size:           4
        .value_kind:     hidden_block_count_z
      - .offset:         28
        .size:           2
        .value_kind:     hidden_group_size_x
      - .offset:         30
        .size:           2
        .value_kind:     hidden_group_size_y
      - .offset:         32
        .size:           2
        .value_kind:     hidden_group_size_z
      - .offset:         34
        .size:           2
        .value_kind:     hidden_remainder_x
      - .offset:         36
        .size:           2
        .value_kind:     hidden_remainder_y
      - .offset:         38
        .size:           2
        .value_kind:     hidden_remainder_z
      - .offset:         56
        .size:           8
        .value_kind:     hidden_global_offset_x
      - .offset:         64
        .size:           8
        .value_kind:     hidden_global_offset_y
      - .offset:         72
        .size:           8
        .value_kind:     hidden_global_offset_z
      - .offset:         80
        .size:           2
        .value_kind:     hidden_grid_dims
    .group_segment_fixed_size: 0
    .kernarg_segment_align: 8
    .kernarg_segment_size: 272
    .language:       OpenCL C
    .language_version:
      - 2
      - 0
    .max_flat_workgroup_size: 256
    .name:           _ZN9rocsparseL25kernel_set_identity_arrayILj256EdlEEvT1_PT0_
    .private_segment_fixed_size: 0
    .sgpr_count:     12
    .sgpr_spill_count: 0
    .symbol:         _ZN9rocsparseL25kernel_set_identity_arrayILj256EdlEEvT1_PT0_.kd
    .uniform_work_group_size: 1
    .uses_dynamic_stack: false
    .vgpr_count:     6
    .vgpr_spill_count: 0
    .wavefront_size: 64
  - .agpr_count:     0
    .args:
      - .offset:         0
        .size:           8
        .value_kind:     by_value
      - .address_space:  global
        .offset:         8
        .size:           8
        .value_kind:     global_buffer
      - .address_space:  global
        .offset:         16
        .size:           8
        .value_kind:     global_buffer
      - .address_space:  global
        .offset:         24
        .size:           8
        .value_kind:     global_buffer
      - .offset:         32
        .size:           4
        .value_kind:     hidden_block_count_x
      - .offset:         36
        .size:           4
        .value_kind:     hidden_block_count_y
      - .offset:         40
        .size:           4
        .value_kind:     hidden_block_count_z
      - .offset:         44
        .size:           2
        .value_kind:     hidden_group_size_x
      - .offset:         46
        .size:           2
        .value_kind:     hidden_group_size_y
      - .offset:         48
        .size:           2
        .value_kind:     hidden_group_size_z
      - .offset:         50
        .size:           2
        .value_kind:     hidden_remainder_x
      - .offset:         52
        .size:           2
        .value_kind:     hidden_remainder_y
      - .offset:         54
        .size:           2
        .value_kind:     hidden_remainder_z
      - .offset:         72
        .size:           8
        .value_kind:     hidden_global_offset_x
      - .offset:         80
        .size:           8
        .value_kind:     hidden_global_offset_y
      - .offset:         88
        .size:           8
        .value_kind:     hidden_global_offset_z
      - .offset:         96
        .size:           2
        .value_kind:     hidden_grid_dims
    .group_segment_fixed_size: 0
    .kernarg_segment_align: 8
    .kernarg_segment_size: 288
    .language:       OpenCL C
    .language_version:
      - 2
      - 0
    .max_flat_workgroup_size: 256
    .name:           _ZN9rocsparseL25kernel_get_permuted_arrayILj256EdlEEvT1_PKT0_PS2_PKS1_
    .private_segment_fixed_size: 0
    .sgpr_count:     20
    .sgpr_spill_count: 0
    .symbol:         _ZN9rocsparseL25kernel_get_permuted_arrayILj256EdlEEvT1_PKT0_PS2_PKS1_.kd
    .uniform_work_group_size: 1
    .uses_dynamic_stack: false
    .vgpr_count:     5
    .vgpr_spill_count: 0
    .wavefront_size: 64
  - .agpr_count:     0
    .args:
      - .offset:         0
        .size:           8
        .value_kind:     by_value
      - .address_space:  global
        .offset:         8
        .size:           8
        .value_kind:     global_buffer
      - .address_space:  global
        .offset:         16
        .size:           8
        .value_kind:     global_buffer
      - .address_space:  global
        .offset:         24
        .size:           8
        .value_kind:     global_buffer
      - .offset:         32
        .size:           4
        .value_kind:     hidden_block_count_x
      - .offset:         36
        .size:           4
        .value_kind:     hidden_block_count_y
      - .offset:         40
        .size:           4
        .value_kind:     hidden_block_count_z
      - .offset:         44
        .size:           2
        .value_kind:     hidden_group_size_x
      - .offset:         46
        .size:           2
        .value_kind:     hidden_group_size_y
      - .offset:         48
        .size:           2
        .value_kind:     hidden_group_size_z
      - .offset:         50
        .size:           2
        .value_kind:     hidden_remainder_x
      - .offset:         52
        .size:           2
        .value_kind:     hidden_remainder_y
      - .offset:         54
        .size:           2
        .value_kind:     hidden_remainder_z
      - .offset:         72
        .size:           8
        .value_kind:     hidden_global_offset_x
      - .offset:         80
        .size:           8
        .value_kind:     hidden_global_offset_y
      - .offset:         88
        .size:           8
        .value_kind:     hidden_global_offset_z
      - .offset:         96
        .size:           2
        .value_kind:     hidden_grid_dims
    .group_segment_fixed_size: 0
    .kernarg_segment_align: 8
    .kernarg_segment_size: 288
    .language:       OpenCL C
    .language_version:
      - 2
      - 0
    .max_flat_workgroup_size: 256
    .name:           _ZN9rocsparseL25kernel_set_permuted_arrayILj256EdlEEvT1_PT0_PKS2_PKS1_
    .private_segment_fixed_size: 0
    .sgpr_count:     20
    .sgpr_spill_count: 0
    .symbol:         _ZN9rocsparseL25kernel_set_permuted_arrayILj256EdlEEvT1_PT0_PKS2_PKS1_.kd
    .uniform_work_group_size: 1
    .uses_dynamic_stack: false
    .vgpr_count:     5
    .vgpr_spill_count: 0
    .wavefront_size: 64
  - .agpr_count:     0
    .args:
      - .offset:         0
        .size:           8
        .value_kind:     by_value
      - .address_space:  global
        .offset:         8
        .size:           8
        .value_kind:     global_buffer
      - .offset:         16
        .size:           4
        .value_kind:     hidden_block_count_x
      - .offset:         20
        .size:           4
        .value_kind:     hidden_block_count_y
      - .offset:         24
        .size:           4
        .value_kind:     hidden_block_count_z
      - .offset:         28
        .size:           2
        .value_kind:     hidden_group_size_x
      - .offset:         30
        .size:           2
        .value_kind:     hidden_group_size_y
      - .offset:         32
        .size:           2
        .value_kind:     hidden_group_size_z
      - .offset:         34
        .size:           2
        .value_kind:     hidden_remainder_x
      - .offset:         36
        .size:           2
        .value_kind:     hidden_remainder_y
      - .offset:         38
        .size:           2
        .value_kind:     hidden_remainder_z
      - .offset:         56
        .size:           8
        .value_kind:     hidden_global_offset_x
      - .offset:         64
        .size:           8
        .value_kind:     hidden_global_offset_y
      - .offset:         72
        .size:           8
        .value_kind:     hidden_global_offset_z
      - .offset:         80
        .size:           2
        .value_kind:     hidden_grid_dims
    .group_segment_fixed_size: 0
    .kernarg_segment_align: 8
    .kernarg_segment_size: 272
    .language:       OpenCL C
    .language_version:
      - 2
      - 0
    .max_flat_workgroup_size: 256
    .name:           _ZN9rocsparseL25kernel_set_identity_arrayILj256E21rocsparse_complex_numIfElEEvT1_PT0_
    .private_segment_fixed_size: 0
    .sgpr_count:     12
    .sgpr_spill_count: 0
    .symbol:         _ZN9rocsparseL25kernel_set_identity_arrayILj256E21rocsparse_complex_numIfElEEvT1_PT0_.kd
    .uniform_work_group_size: 1
    .uses_dynamic_stack: false
    .vgpr_count:     4
    .vgpr_spill_count: 0
    .wavefront_size: 64
  - .agpr_count:     0
    .args:
      - .offset:         0
        .size:           8
        .value_kind:     by_value
      - .address_space:  global
        .offset:         8
        .size:           8
        .value_kind:     global_buffer
      - .address_space:  global
        .offset:         16
        .size:           8
        .value_kind:     global_buffer
      - .address_space:  global
        .offset:         24
        .size:           8
        .value_kind:     global_buffer
      - .offset:         32
        .size:           4
        .value_kind:     hidden_block_count_x
      - .offset:         36
        .size:           4
        .value_kind:     hidden_block_count_y
      - .offset:         40
        .size:           4
        .value_kind:     hidden_block_count_z
      - .offset:         44
        .size:           2
        .value_kind:     hidden_group_size_x
      - .offset:         46
        .size:           2
        .value_kind:     hidden_group_size_y
      - .offset:         48
        .size:           2
        .value_kind:     hidden_group_size_z
      - .offset:         50
        .size:           2
        .value_kind:     hidden_remainder_x
      - .offset:         52
        .size:           2
        .value_kind:     hidden_remainder_y
      - .offset:         54
        .size:           2
        .value_kind:     hidden_remainder_z
      - .offset:         72
        .size:           8
        .value_kind:     hidden_global_offset_x
      - .offset:         80
        .size:           8
        .value_kind:     hidden_global_offset_y
      - .offset:         88
        .size:           8
        .value_kind:     hidden_global_offset_z
      - .offset:         96
        .size:           2
        .value_kind:     hidden_grid_dims
    .group_segment_fixed_size: 0
    .kernarg_segment_align: 8
    .kernarg_segment_size: 288
    .language:       OpenCL C
    .language_version:
      - 2
      - 0
    .max_flat_workgroup_size: 256
    .name:           _ZN9rocsparseL25kernel_get_permuted_arrayILj256E21rocsparse_complex_numIfElEEvT1_PKT0_PS4_PKS3_
    .private_segment_fixed_size: 0
    .sgpr_count:     20
    .sgpr_spill_count: 0
    .symbol:         _ZN9rocsparseL25kernel_get_permuted_arrayILj256E21rocsparse_complex_numIfElEEvT1_PKT0_PS4_PKS3_.kd
    .uniform_work_group_size: 1
    .uses_dynamic_stack: false
    .vgpr_count:     5
    .vgpr_spill_count: 0
    .wavefront_size: 64
  - .agpr_count:     0
    .args:
      - .offset:         0
        .size:           8
        .value_kind:     by_value
      - .address_space:  global
        .offset:         8
        .size:           8
        .value_kind:     global_buffer
      - .address_space:  global
        .offset:         16
        .size:           8
        .value_kind:     global_buffer
      - .address_space:  global
        .offset:         24
        .size:           8
        .value_kind:     global_buffer
      - .offset:         32
        .size:           4
        .value_kind:     hidden_block_count_x
      - .offset:         36
        .size:           4
        .value_kind:     hidden_block_count_y
      - .offset:         40
        .size:           4
        .value_kind:     hidden_block_count_z
      - .offset:         44
        .size:           2
        .value_kind:     hidden_group_size_x
      - .offset:         46
        .size:           2
        .value_kind:     hidden_group_size_y
      - .offset:         48
        .size:           2
        .value_kind:     hidden_group_size_z
      - .offset:         50
        .size:           2
        .value_kind:     hidden_remainder_x
      - .offset:         52
        .size:           2
        .value_kind:     hidden_remainder_y
      - .offset:         54
        .size:           2
        .value_kind:     hidden_remainder_z
      - .offset:         72
        .size:           8
        .value_kind:     hidden_global_offset_x
      - .offset:         80
        .size:           8
        .value_kind:     hidden_global_offset_y
      - .offset:         88
        .size:           8
        .value_kind:     hidden_global_offset_z
      - .offset:         96
        .size:           2
        .value_kind:     hidden_grid_dims
    .group_segment_fixed_size: 0
    .kernarg_segment_align: 8
    .kernarg_segment_size: 288
    .language:       OpenCL C
    .language_version:
      - 2
      - 0
    .max_flat_workgroup_size: 256
    .name:           _ZN9rocsparseL25kernel_set_permuted_arrayILj256E21rocsparse_complex_numIfElEEvT1_PT0_PKS4_PKS3_
    .private_segment_fixed_size: 0
    .sgpr_count:     20
    .sgpr_spill_count: 0
    .symbol:         _ZN9rocsparseL25kernel_set_permuted_arrayILj256E21rocsparse_complex_numIfElEEvT1_PT0_PKS4_PKS3_.kd
    .uniform_work_group_size: 1
    .uses_dynamic_stack: false
    .vgpr_count:     5
    .vgpr_spill_count: 0
    .wavefront_size: 64
  - .agpr_count:     0
    .args:
      - .offset:         0
        .size:           8
        .value_kind:     by_value
      - .address_space:  global
        .offset:         8
        .size:           8
        .value_kind:     global_buffer
      - .offset:         16
        .size:           4
        .value_kind:     hidden_block_count_x
      - .offset:         20
        .size:           4
        .value_kind:     hidden_block_count_y
      - .offset:         24
        .size:           4
        .value_kind:     hidden_block_count_z
      - .offset:         28
        .size:           2
        .value_kind:     hidden_group_size_x
      - .offset:         30
        .size:           2
        .value_kind:     hidden_group_size_y
      - .offset:         32
        .size:           2
        .value_kind:     hidden_group_size_z
      - .offset:         34
        .size:           2
        .value_kind:     hidden_remainder_x
      - .offset:         36
        .size:           2
        .value_kind:     hidden_remainder_y
      - .offset:         38
        .size:           2
        .value_kind:     hidden_remainder_z
      - .offset:         56
        .size:           8
        .value_kind:     hidden_global_offset_x
      - .offset:         64
        .size:           8
        .value_kind:     hidden_global_offset_y
      - .offset:         72
        .size:           8
        .value_kind:     hidden_global_offset_z
      - .offset:         80
        .size:           2
        .value_kind:     hidden_grid_dims
    .group_segment_fixed_size: 0
    .kernarg_segment_align: 8
    .kernarg_segment_size: 272
    .language:       OpenCL C
    .language_version:
      - 2
      - 0
    .max_flat_workgroup_size: 256
    .name:           _ZN9rocsparseL25kernel_set_identity_arrayILj256E21rocsparse_complex_numIdElEEvT1_PT0_
    .private_segment_fixed_size: 0
    .sgpr_count:     12
    .sgpr_spill_count: 0
    .symbol:         _ZN9rocsparseL25kernel_set_identity_arrayILj256E21rocsparse_complex_numIdElEEvT1_PT0_.kd
    .uniform_work_group_size: 1
    .uses_dynamic_stack: false
    .vgpr_count:     6
    .vgpr_spill_count: 0
    .wavefront_size: 64
  - .agpr_count:     0
    .args:
      - .offset:         0
        .size:           8
        .value_kind:     by_value
      - .address_space:  global
        .offset:         8
        .size:           8
        .value_kind:     global_buffer
      - .address_space:  global
        .offset:         16
        .size:           8
        .value_kind:     global_buffer
      - .address_space:  global
        .offset:         24
        .size:           8
        .value_kind:     global_buffer
      - .offset:         32
        .size:           4
        .value_kind:     hidden_block_count_x
      - .offset:         36
        .size:           4
        .value_kind:     hidden_block_count_y
      - .offset:         40
        .size:           4
        .value_kind:     hidden_block_count_z
      - .offset:         44
        .size:           2
        .value_kind:     hidden_group_size_x
      - .offset:         46
        .size:           2
        .value_kind:     hidden_group_size_y
      - .offset:         48
        .size:           2
        .value_kind:     hidden_group_size_z
      - .offset:         50
        .size:           2
        .value_kind:     hidden_remainder_x
      - .offset:         52
        .size:           2
        .value_kind:     hidden_remainder_y
      - .offset:         54
        .size:           2
        .value_kind:     hidden_remainder_z
      - .offset:         72
        .size:           8
        .value_kind:     hidden_global_offset_x
      - .offset:         80
        .size:           8
        .value_kind:     hidden_global_offset_y
      - .offset:         88
        .size:           8
        .value_kind:     hidden_global_offset_z
      - .offset:         96
        .size:           2
        .value_kind:     hidden_grid_dims
    .group_segment_fixed_size: 0
    .kernarg_segment_align: 8
    .kernarg_segment_size: 288
    .language:       OpenCL C
    .language_version:
      - 2
      - 0
    .max_flat_workgroup_size: 256
    .name:           _ZN9rocsparseL25kernel_get_permuted_arrayILj256E21rocsparse_complex_numIdElEEvT1_PKT0_PS4_PKS3_
    .private_segment_fixed_size: 0
    .sgpr_count:     20
    .sgpr_spill_count: 0
    .symbol:         _ZN9rocsparseL25kernel_get_permuted_arrayILj256E21rocsparse_complex_numIdElEEvT1_PKT0_PS4_PKS3_.kd
    .uniform_work_group_size: 1
    .uses_dynamic_stack: false
    .vgpr_count:     7
    .vgpr_spill_count: 0
    .wavefront_size: 64
  - .agpr_count:     0
    .args:
      - .offset:         0
        .size:           8
        .value_kind:     by_value
      - .address_space:  global
        .offset:         8
        .size:           8
        .value_kind:     global_buffer
      - .address_space:  global
        .offset:         16
        .size:           8
        .value_kind:     global_buffer
      - .address_space:  global
        .offset:         24
        .size:           8
        .value_kind:     global_buffer
      - .offset:         32
        .size:           4
        .value_kind:     hidden_block_count_x
      - .offset:         36
        .size:           4
        .value_kind:     hidden_block_count_y
      - .offset:         40
        .size:           4
        .value_kind:     hidden_block_count_z
      - .offset:         44
        .size:           2
        .value_kind:     hidden_group_size_x
      - .offset:         46
        .size:           2
        .value_kind:     hidden_group_size_y
      - .offset:         48
        .size:           2
        .value_kind:     hidden_group_size_z
      - .offset:         50
        .size:           2
        .value_kind:     hidden_remainder_x
      - .offset:         52
        .size:           2
        .value_kind:     hidden_remainder_y
      - .offset:         54
        .size:           2
        .value_kind:     hidden_remainder_z
      - .offset:         72
        .size:           8
        .value_kind:     hidden_global_offset_x
      - .offset:         80
        .size:           8
        .value_kind:     hidden_global_offset_y
      - .offset:         88
        .size:           8
        .value_kind:     hidden_global_offset_z
      - .offset:         96
        .size:           2
        .value_kind:     hidden_grid_dims
    .group_segment_fixed_size: 0
    .kernarg_segment_align: 8
    .kernarg_segment_size: 288
    .language:       OpenCL C
    .language_version:
      - 2
      - 0
    .max_flat_workgroup_size: 256
    .name:           _ZN9rocsparseL25kernel_set_permuted_arrayILj256E21rocsparse_complex_numIdElEEvT1_PT0_PKS4_PKS3_
    .private_segment_fixed_size: 0
    .sgpr_count:     20
    .sgpr_spill_count: 0
    .symbol:         _ZN9rocsparseL25kernel_set_permuted_arrayILj256E21rocsparse_complex_numIdElEEvT1_PT0_PKS4_PKS3_.kd
    .uniform_work_group_size: 1
    .uses_dynamic_stack: false
    .vgpr_count:     7
    .vgpr_spill_count: 0
    .wavefront_size: 64
  - .agpr_count:     0
    .args:
      - .offset:         0
        .size:           8
        .value_kind:     by_value
      - .address_space:  global
        .offset:         8
        .size:           8
        .value_kind:     global_buffer
      - .offset:         16
        .size:           4
        .value_kind:     hidden_block_count_x
      - .offset:         20
        .size:           4
        .value_kind:     hidden_block_count_y
      - .offset:         24
        .size:           4
        .value_kind:     hidden_block_count_z
      - .offset:         28
        .size:           2
        .value_kind:     hidden_group_size_x
      - .offset:         30
        .size:           2
        .value_kind:     hidden_group_size_y
      - .offset:         32
        .size:           2
        .value_kind:     hidden_group_size_z
      - .offset:         34
        .size:           2
        .value_kind:     hidden_remainder_x
      - .offset:         36
        .size:           2
        .value_kind:     hidden_remainder_y
      - .offset:         38
        .size:           2
        .value_kind:     hidden_remainder_z
      - .offset:         56
        .size:           8
        .value_kind:     hidden_global_offset_x
      - .offset:         64
        .size:           8
        .value_kind:     hidden_global_offset_y
      - .offset:         72
        .size:           8
        .value_kind:     hidden_global_offset_z
      - .offset:         80
        .size:           2
        .value_kind:     hidden_grid_dims
    .group_segment_fixed_size: 0
    .kernarg_segment_align: 8
    .kernarg_segment_size: 272
    .language:       OpenCL C
    .language_version:
      - 2
      - 0
    .max_flat_workgroup_size: 512
    .name:           _ZN9rocsparseL25kernel_set_identity_arrayILj512EflEEvT1_PT0_
    .private_segment_fixed_size: 0
    .sgpr_count:     12
    .sgpr_spill_count: 0
    .symbol:         _ZN9rocsparseL25kernel_set_identity_arrayILj512EflEEvT1_PT0_.kd
    .uniform_work_group_size: 1
    .uses_dynamic_stack: false
    .vgpr_count:     3
    .vgpr_spill_count: 0
    .wavefront_size: 64
  - .agpr_count:     0
    .args:
      - .offset:         0
        .size:           8
        .value_kind:     by_value
      - .address_space:  global
        .offset:         8
        .size:           8
        .value_kind:     global_buffer
      - .address_space:  global
        .offset:         16
        .size:           8
        .value_kind:     global_buffer
      - .address_space:  global
        .offset:         24
        .size:           8
        .value_kind:     global_buffer
      - .offset:         32
        .size:           4
        .value_kind:     hidden_block_count_x
      - .offset:         36
        .size:           4
        .value_kind:     hidden_block_count_y
      - .offset:         40
        .size:           4
        .value_kind:     hidden_block_count_z
      - .offset:         44
        .size:           2
        .value_kind:     hidden_group_size_x
      - .offset:         46
        .size:           2
        .value_kind:     hidden_group_size_y
      - .offset:         48
        .size:           2
        .value_kind:     hidden_group_size_z
      - .offset:         50
        .size:           2
        .value_kind:     hidden_remainder_x
      - .offset:         52
        .size:           2
        .value_kind:     hidden_remainder_y
      - .offset:         54
        .size:           2
        .value_kind:     hidden_remainder_z
      - .offset:         72
        .size:           8
        .value_kind:     hidden_global_offset_x
      - .offset:         80
        .size:           8
        .value_kind:     hidden_global_offset_y
      - .offset:         88
        .size:           8
        .value_kind:     hidden_global_offset_z
      - .offset:         96
        .size:           2
        .value_kind:     hidden_grid_dims
    .group_segment_fixed_size: 0
    .kernarg_segment_align: 8
    .kernarg_segment_size: 288
    .language:       OpenCL C
    .language_version:
      - 2
      - 0
    .max_flat_workgroup_size: 512
    .name:           _ZN9rocsparseL25kernel_get_permuted_arrayILj512EflEEvT1_PKT0_PS2_PKS1_
    .private_segment_fixed_size: 0
    .sgpr_count:     20
    .sgpr_spill_count: 0
    .symbol:         _ZN9rocsparseL25kernel_get_permuted_arrayILj512EflEEvT1_PKT0_PS2_PKS1_.kd
    .uniform_work_group_size: 1
    .uses_dynamic_stack: false
    .vgpr_count:     5
    .vgpr_spill_count: 0
    .wavefront_size: 64
  - .agpr_count:     0
    .args:
      - .offset:         0
        .size:           8
        .value_kind:     by_value
      - .address_space:  global
        .offset:         8
        .size:           8
        .value_kind:     global_buffer
      - .address_space:  global
        .offset:         16
        .size:           8
        .value_kind:     global_buffer
      - .address_space:  global
        .offset:         24
        .size:           8
        .value_kind:     global_buffer
      - .offset:         32
        .size:           4
        .value_kind:     hidden_block_count_x
      - .offset:         36
        .size:           4
        .value_kind:     hidden_block_count_y
      - .offset:         40
        .size:           4
        .value_kind:     hidden_block_count_z
      - .offset:         44
        .size:           2
        .value_kind:     hidden_group_size_x
      - .offset:         46
        .size:           2
        .value_kind:     hidden_group_size_y
      - .offset:         48
        .size:           2
        .value_kind:     hidden_group_size_z
      - .offset:         50
        .size:           2
        .value_kind:     hidden_remainder_x
      - .offset:         52
        .size:           2
        .value_kind:     hidden_remainder_y
      - .offset:         54
        .size:           2
        .value_kind:     hidden_remainder_z
      - .offset:         72
        .size:           8
        .value_kind:     hidden_global_offset_x
      - .offset:         80
        .size:           8
        .value_kind:     hidden_global_offset_y
      - .offset:         88
        .size:           8
        .value_kind:     hidden_global_offset_z
      - .offset:         96
        .size:           2
        .value_kind:     hidden_grid_dims
    .group_segment_fixed_size: 0
    .kernarg_segment_align: 8
    .kernarg_segment_size: 288
    .language:       OpenCL C
    .language_version:
      - 2
      - 0
    .max_flat_workgroup_size: 512
    .name:           _ZN9rocsparseL25kernel_set_permuted_arrayILj512EflEEvT1_PT0_PKS2_PKS1_
    .private_segment_fixed_size: 0
    .sgpr_count:     20
    .sgpr_spill_count: 0
    .symbol:         _ZN9rocsparseL25kernel_set_permuted_arrayILj512EflEEvT1_PT0_PKS2_PKS1_.kd
    .uniform_work_group_size: 1
    .uses_dynamic_stack: false
    .vgpr_count:     6
    .vgpr_spill_count: 0
    .wavefront_size: 64
  - .agpr_count:     0
    .args:
      - .offset:         0
        .size:           8
        .value_kind:     by_value
      - .address_space:  global
        .offset:         8
        .size:           8
        .value_kind:     global_buffer
      - .offset:         16
        .size:           4
        .value_kind:     hidden_block_count_x
      - .offset:         20
        .size:           4
        .value_kind:     hidden_block_count_y
      - .offset:         24
        .size:           4
        .value_kind:     hidden_block_count_z
      - .offset:         28
        .size:           2
        .value_kind:     hidden_group_size_x
      - .offset:         30
        .size:           2
        .value_kind:     hidden_group_size_y
      - .offset:         32
        .size:           2
        .value_kind:     hidden_group_size_z
      - .offset:         34
        .size:           2
        .value_kind:     hidden_remainder_x
      - .offset:         36
        .size:           2
        .value_kind:     hidden_remainder_y
      - .offset:         38
        .size:           2
        .value_kind:     hidden_remainder_z
      - .offset:         56
        .size:           8
        .value_kind:     hidden_global_offset_x
      - .offset:         64
        .size:           8
        .value_kind:     hidden_global_offset_y
      - .offset:         72
        .size:           8
        .value_kind:     hidden_global_offset_z
      - .offset:         80
        .size:           2
        .value_kind:     hidden_grid_dims
    .group_segment_fixed_size: 0
    .kernarg_segment_align: 8
    .kernarg_segment_size: 272
    .language:       OpenCL C
    .language_version:
      - 2
      - 0
    .max_flat_workgroup_size: 512
    .name:           _ZN9rocsparseL25kernel_set_identity_arrayILj512EdlEEvT1_PT0_
    .private_segment_fixed_size: 0
    .sgpr_count:     12
    .sgpr_spill_count: 0
    .symbol:         _ZN9rocsparseL25kernel_set_identity_arrayILj512EdlEEvT1_PT0_.kd
    .uniform_work_group_size: 1
    .uses_dynamic_stack: false
    .vgpr_count:     6
    .vgpr_spill_count: 0
    .wavefront_size: 64
  - .agpr_count:     0
    .args:
      - .offset:         0
        .size:           8
        .value_kind:     by_value
      - .address_space:  global
        .offset:         8
        .size:           8
        .value_kind:     global_buffer
      - .address_space:  global
        .offset:         16
        .size:           8
        .value_kind:     global_buffer
      - .address_space:  global
        .offset:         24
        .size:           8
        .value_kind:     global_buffer
      - .offset:         32
        .size:           4
        .value_kind:     hidden_block_count_x
      - .offset:         36
        .size:           4
        .value_kind:     hidden_block_count_y
      - .offset:         40
        .size:           4
        .value_kind:     hidden_block_count_z
      - .offset:         44
        .size:           2
        .value_kind:     hidden_group_size_x
      - .offset:         46
        .size:           2
        .value_kind:     hidden_group_size_y
      - .offset:         48
        .size:           2
        .value_kind:     hidden_group_size_z
      - .offset:         50
        .size:           2
        .value_kind:     hidden_remainder_x
      - .offset:         52
        .size:           2
        .value_kind:     hidden_remainder_y
      - .offset:         54
        .size:           2
        .value_kind:     hidden_remainder_z
      - .offset:         72
        .size:           8
        .value_kind:     hidden_global_offset_x
      - .offset:         80
        .size:           8
        .value_kind:     hidden_global_offset_y
      - .offset:         88
        .size:           8
        .value_kind:     hidden_global_offset_z
      - .offset:         96
        .size:           2
        .value_kind:     hidden_grid_dims
    .group_segment_fixed_size: 0
    .kernarg_segment_align: 8
    .kernarg_segment_size: 288
    .language:       OpenCL C
    .language_version:
      - 2
      - 0
    .max_flat_workgroup_size: 512
    .name:           _ZN9rocsparseL25kernel_get_permuted_arrayILj512EdlEEvT1_PKT0_PS2_PKS1_
    .private_segment_fixed_size: 0
    .sgpr_count:     20
    .sgpr_spill_count: 0
    .symbol:         _ZN9rocsparseL25kernel_get_permuted_arrayILj512EdlEEvT1_PKT0_PS2_PKS1_.kd
    .uniform_work_group_size: 1
    .uses_dynamic_stack: false
    .vgpr_count:     5
    .vgpr_spill_count: 0
    .wavefront_size: 64
  - .agpr_count:     0
    .args:
      - .offset:         0
        .size:           8
        .value_kind:     by_value
      - .address_space:  global
        .offset:         8
        .size:           8
        .value_kind:     global_buffer
      - .address_space:  global
        .offset:         16
        .size:           8
        .value_kind:     global_buffer
      - .address_space:  global
        .offset:         24
        .size:           8
        .value_kind:     global_buffer
      - .offset:         32
        .size:           4
        .value_kind:     hidden_block_count_x
      - .offset:         36
        .size:           4
        .value_kind:     hidden_block_count_y
      - .offset:         40
        .size:           4
        .value_kind:     hidden_block_count_z
      - .offset:         44
        .size:           2
        .value_kind:     hidden_group_size_x
      - .offset:         46
        .size:           2
        .value_kind:     hidden_group_size_y
      - .offset:         48
        .size:           2
        .value_kind:     hidden_group_size_z
      - .offset:         50
        .size:           2
        .value_kind:     hidden_remainder_x
      - .offset:         52
        .size:           2
        .value_kind:     hidden_remainder_y
      - .offset:         54
        .size:           2
        .value_kind:     hidden_remainder_z
      - .offset:         72
        .size:           8
        .value_kind:     hidden_global_offset_x
      - .offset:         80
        .size:           8
        .value_kind:     hidden_global_offset_y
      - .offset:         88
        .size:           8
        .value_kind:     hidden_global_offset_z
      - .offset:         96
        .size:           2
        .value_kind:     hidden_grid_dims
    .group_segment_fixed_size: 0
    .kernarg_segment_align: 8
    .kernarg_segment_size: 288
    .language:       OpenCL C
    .language_version:
      - 2
      - 0
    .max_flat_workgroup_size: 512
    .name:           _ZN9rocsparseL25kernel_set_permuted_arrayILj512EdlEEvT1_PT0_PKS2_PKS1_
    .private_segment_fixed_size: 0
    .sgpr_count:     20
    .sgpr_spill_count: 0
    .symbol:         _ZN9rocsparseL25kernel_set_permuted_arrayILj512EdlEEvT1_PT0_PKS2_PKS1_.kd
    .uniform_work_group_size: 1
    .uses_dynamic_stack: false
    .vgpr_count:     5
    .vgpr_spill_count: 0
    .wavefront_size: 64
  - .agpr_count:     0
    .args:
      - .offset:         0
        .size:           8
        .value_kind:     by_value
      - .address_space:  global
        .offset:         8
        .size:           8
        .value_kind:     global_buffer
      - .offset:         16
        .size:           4
        .value_kind:     hidden_block_count_x
      - .offset:         20
        .size:           4
        .value_kind:     hidden_block_count_y
      - .offset:         24
        .size:           4
        .value_kind:     hidden_block_count_z
      - .offset:         28
        .size:           2
        .value_kind:     hidden_group_size_x
      - .offset:         30
        .size:           2
        .value_kind:     hidden_group_size_y
      - .offset:         32
        .size:           2
        .value_kind:     hidden_group_size_z
      - .offset:         34
        .size:           2
        .value_kind:     hidden_remainder_x
      - .offset:         36
        .size:           2
        .value_kind:     hidden_remainder_y
      - .offset:         38
        .size:           2
        .value_kind:     hidden_remainder_z
      - .offset:         56
        .size:           8
        .value_kind:     hidden_global_offset_x
      - .offset:         64
        .size:           8
        .value_kind:     hidden_global_offset_y
      - .offset:         72
        .size:           8
        .value_kind:     hidden_global_offset_z
      - .offset:         80
        .size:           2
        .value_kind:     hidden_grid_dims
    .group_segment_fixed_size: 0
    .kernarg_segment_align: 8
    .kernarg_segment_size: 272
    .language:       OpenCL C
    .language_version:
      - 2
      - 0
    .max_flat_workgroup_size: 512
    .name:           _ZN9rocsparseL25kernel_set_identity_arrayILj512E21rocsparse_complex_numIfElEEvT1_PT0_
    .private_segment_fixed_size: 0
    .sgpr_count:     12
    .sgpr_spill_count: 0
    .symbol:         _ZN9rocsparseL25kernel_set_identity_arrayILj512E21rocsparse_complex_numIfElEEvT1_PT0_.kd
    .uniform_work_group_size: 1
    .uses_dynamic_stack: false
    .vgpr_count:     4
    .vgpr_spill_count: 0
    .wavefront_size: 64
  - .agpr_count:     0
    .args:
      - .offset:         0
        .size:           8
        .value_kind:     by_value
      - .address_space:  global
        .offset:         8
        .size:           8
        .value_kind:     global_buffer
      - .address_space:  global
        .offset:         16
        .size:           8
        .value_kind:     global_buffer
      - .address_space:  global
        .offset:         24
        .size:           8
        .value_kind:     global_buffer
      - .offset:         32
        .size:           4
        .value_kind:     hidden_block_count_x
      - .offset:         36
        .size:           4
        .value_kind:     hidden_block_count_y
      - .offset:         40
        .size:           4
        .value_kind:     hidden_block_count_z
      - .offset:         44
        .size:           2
        .value_kind:     hidden_group_size_x
      - .offset:         46
        .size:           2
        .value_kind:     hidden_group_size_y
      - .offset:         48
        .size:           2
        .value_kind:     hidden_group_size_z
      - .offset:         50
        .size:           2
        .value_kind:     hidden_remainder_x
      - .offset:         52
        .size:           2
        .value_kind:     hidden_remainder_y
      - .offset:         54
        .size:           2
        .value_kind:     hidden_remainder_z
      - .offset:         72
        .size:           8
        .value_kind:     hidden_global_offset_x
      - .offset:         80
        .size:           8
        .value_kind:     hidden_global_offset_y
      - .offset:         88
        .size:           8
        .value_kind:     hidden_global_offset_z
      - .offset:         96
        .size:           2
        .value_kind:     hidden_grid_dims
    .group_segment_fixed_size: 0
    .kernarg_segment_align: 8
    .kernarg_segment_size: 288
    .language:       OpenCL C
    .language_version:
      - 2
      - 0
    .max_flat_workgroup_size: 512
    .name:           _ZN9rocsparseL25kernel_get_permuted_arrayILj512E21rocsparse_complex_numIfElEEvT1_PKT0_PS4_PKS3_
    .private_segment_fixed_size: 0
    .sgpr_count:     20
    .sgpr_spill_count: 0
    .symbol:         _ZN9rocsparseL25kernel_get_permuted_arrayILj512E21rocsparse_complex_numIfElEEvT1_PKT0_PS4_PKS3_.kd
    .uniform_work_group_size: 1
    .uses_dynamic_stack: false
    .vgpr_count:     5
    .vgpr_spill_count: 0
    .wavefront_size: 64
  - .agpr_count:     0
    .args:
      - .offset:         0
        .size:           8
        .value_kind:     by_value
      - .address_space:  global
        .offset:         8
        .size:           8
        .value_kind:     global_buffer
      - .address_space:  global
        .offset:         16
        .size:           8
        .value_kind:     global_buffer
      - .address_space:  global
        .offset:         24
        .size:           8
        .value_kind:     global_buffer
      - .offset:         32
        .size:           4
        .value_kind:     hidden_block_count_x
      - .offset:         36
        .size:           4
        .value_kind:     hidden_block_count_y
      - .offset:         40
        .size:           4
        .value_kind:     hidden_block_count_z
      - .offset:         44
        .size:           2
        .value_kind:     hidden_group_size_x
      - .offset:         46
        .size:           2
        .value_kind:     hidden_group_size_y
      - .offset:         48
        .size:           2
        .value_kind:     hidden_group_size_z
      - .offset:         50
        .size:           2
        .value_kind:     hidden_remainder_x
      - .offset:         52
        .size:           2
        .value_kind:     hidden_remainder_y
      - .offset:         54
        .size:           2
        .value_kind:     hidden_remainder_z
      - .offset:         72
        .size:           8
        .value_kind:     hidden_global_offset_x
      - .offset:         80
        .size:           8
        .value_kind:     hidden_global_offset_y
      - .offset:         88
        .size:           8
        .value_kind:     hidden_global_offset_z
      - .offset:         96
        .size:           2
        .value_kind:     hidden_grid_dims
    .group_segment_fixed_size: 0
    .kernarg_segment_align: 8
    .kernarg_segment_size: 288
    .language:       OpenCL C
    .language_version:
      - 2
      - 0
    .max_flat_workgroup_size: 512
    .name:           _ZN9rocsparseL25kernel_set_permuted_arrayILj512E21rocsparse_complex_numIfElEEvT1_PT0_PKS4_PKS3_
    .private_segment_fixed_size: 0
    .sgpr_count:     20
    .sgpr_spill_count: 0
    .symbol:         _ZN9rocsparseL25kernel_set_permuted_arrayILj512E21rocsparse_complex_numIfElEEvT1_PT0_PKS4_PKS3_.kd
    .uniform_work_group_size: 1
    .uses_dynamic_stack: false
    .vgpr_count:     5
    .vgpr_spill_count: 0
    .wavefront_size: 64
  - .agpr_count:     0
    .args:
      - .offset:         0
        .size:           8
        .value_kind:     by_value
      - .address_space:  global
        .offset:         8
        .size:           8
        .value_kind:     global_buffer
      - .offset:         16
        .size:           4
        .value_kind:     hidden_block_count_x
      - .offset:         20
        .size:           4
        .value_kind:     hidden_block_count_y
      - .offset:         24
        .size:           4
        .value_kind:     hidden_block_count_z
      - .offset:         28
        .size:           2
        .value_kind:     hidden_group_size_x
      - .offset:         30
        .size:           2
        .value_kind:     hidden_group_size_y
      - .offset:         32
        .size:           2
        .value_kind:     hidden_group_size_z
      - .offset:         34
        .size:           2
        .value_kind:     hidden_remainder_x
      - .offset:         36
        .size:           2
        .value_kind:     hidden_remainder_y
      - .offset:         38
        .size:           2
        .value_kind:     hidden_remainder_z
      - .offset:         56
        .size:           8
        .value_kind:     hidden_global_offset_x
      - .offset:         64
        .size:           8
        .value_kind:     hidden_global_offset_y
      - .offset:         72
        .size:           8
        .value_kind:     hidden_global_offset_z
      - .offset:         80
        .size:           2
        .value_kind:     hidden_grid_dims
    .group_segment_fixed_size: 0
    .kernarg_segment_align: 8
    .kernarg_segment_size: 272
    .language:       OpenCL C
    .language_version:
      - 2
      - 0
    .max_flat_workgroup_size: 512
    .name:           _ZN9rocsparseL25kernel_set_identity_arrayILj512E21rocsparse_complex_numIdElEEvT1_PT0_
    .private_segment_fixed_size: 0
    .sgpr_count:     12
    .sgpr_spill_count: 0
    .symbol:         _ZN9rocsparseL25kernel_set_identity_arrayILj512E21rocsparse_complex_numIdElEEvT1_PT0_.kd
    .uniform_work_group_size: 1
    .uses_dynamic_stack: false
    .vgpr_count:     6
    .vgpr_spill_count: 0
    .wavefront_size: 64
  - .agpr_count:     0
    .args:
      - .offset:         0
        .size:           8
        .value_kind:     by_value
      - .address_space:  global
        .offset:         8
        .size:           8
        .value_kind:     global_buffer
      - .address_space:  global
        .offset:         16
        .size:           8
        .value_kind:     global_buffer
      - .address_space:  global
        .offset:         24
        .size:           8
        .value_kind:     global_buffer
      - .offset:         32
        .size:           4
        .value_kind:     hidden_block_count_x
      - .offset:         36
        .size:           4
        .value_kind:     hidden_block_count_y
      - .offset:         40
        .size:           4
        .value_kind:     hidden_block_count_z
      - .offset:         44
        .size:           2
        .value_kind:     hidden_group_size_x
      - .offset:         46
        .size:           2
        .value_kind:     hidden_group_size_y
      - .offset:         48
        .size:           2
        .value_kind:     hidden_group_size_z
      - .offset:         50
        .size:           2
        .value_kind:     hidden_remainder_x
      - .offset:         52
        .size:           2
        .value_kind:     hidden_remainder_y
      - .offset:         54
        .size:           2
        .value_kind:     hidden_remainder_z
      - .offset:         72
        .size:           8
        .value_kind:     hidden_global_offset_x
      - .offset:         80
        .size:           8
        .value_kind:     hidden_global_offset_y
      - .offset:         88
        .size:           8
        .value_kind:     hidden_global_offset_z
      - .offset:         96
        .size:           2
        .value_kind:     hidden_grid_dims
    .group_segment_fixed_size: 0
    .kernarg_segment_align: 8
    .kernarg_segment_size: 288
    .language:       OpenCL C
    .language_version:
      - 2
      - 0
    .max_flat_workgroup_size: 512
    .name:           _ZN9rocsparseL25kernel_get_permuted_arrayILj512E21rocsparse_complex_numIdElEEvT1_PKT0_PS4_PKS3_
    .private_segment_fixed_size: 0
    .sgpr_count:     20
    .sgpr_spill_count: 0
    .symbol:         _ZN9rocsparseL25kernel_get_permuted_arrayILj512E21rocsparse_complex_numIdElEEvT1_PKT0_PS4_PKS3_.kd
    .uniform_work_group_size: 1
    .uses_dynamic_stack: false
    .vgpr_count:     7
    .vgpr_spill_count: 0
    .wavefront_size: 64
  - .agpr_count:     0
    .args:
      - .offset:         0
        .size:           8
        .value_kind:     by_value
      - .address_space:  global
        .offset:         8
        .size:           8
        .value_kind:     global_buffer
      - .address_space:  global
        .offset:         16
        .size:           8
        .value_kind:     global_buffer
      - .address_space:  global
        .offset:         24
        .size:           8
        .value_kind:     global_buffer
      - .offset:         32
        .size:           4
        .value_kind:     hidden_block_count_x
      - .offset:         36
        .size:           4
        .value_kind:     hidden_block_count_y
      - .offset:         40
        .size:           4
        .value_kind:     hidden_block_count_z
      - .offset:         44
        .size:           2
        .value_kind:     hidden_group_size_x
      - .offset:         46
        .size:           2
        .value_kind:     hidden_group_size_y
      - .offset:         48
        .size:           2
        .value_kind:     hidden_group_size_z
      - .offset:         50
        .size:           2
        .value_kind:     hidden_remainder_x
      - .offset:         52
        .size:           2
        .value_kind:     hidden_remainder_y
      - .offset:         54
        .size:           2
        .value_kind:     hidden_remainder_z
      - .offset:         72
        .size:           8
        .value_kind:     hidden_global_offset_x
      - .offset:         80
        .size:           8
        .value_kind:     hidden_global_offset_y
      - .offset:         88
        .size:           8
        .value_kind:     hidden_global_offset_z
      - .offset:         96
        .size:           2
        .value_kind:     hidden_grid_dims
    .group_segment_fixed_size: 0
    .kernarg_segment_align: 8
    .kernarg_segment_size: 288
    .language:       OpenCL C
    .language_version:
      - 2
      - 0
    .max_flat_workgroup_size: 512
    .name:           _ZN9rocsparseL25kernel_set_permuted_arrayILj512E21rocsparse_complex_numIdElEEvT1_PT0_PKS4_PKS3_
    .private_segment_fixed_size: 0
    .sgpr_count:     20
    .sgpr_spill_count: 0
    .symbol:         _ZN9rocsparseL25kernel_set_permuted_arrayILj512E21rocsparse_complex_numIdElEEvT1_PT0_PKS4_PKS3_.kd
    .uniform_work_group_size: 1
    .uses_dynamic_stack: false
    .vgpr_count:     7
    .vgpr_spill_count: 0
    .wavefront_size: 64
  - .agpr_count:     0
    .args:
      - .offset:         0
        .size:           8
        .value_kind:     by_value
      - .actual_access:  read_only
        .address_space:  global
        .offset:         8
        .size:           8
        .value_kind:     global_buffer
      - .actual_access:  read_only
        .address_space:  global
        .offset:         16
        .size:           8
        .value_kind:     global_buffer
      - .address_space:  global
        .offset:         24
        .size:           8
        .value_kind:     global_buffer
      - .actual_access:  read_only
        .address_space:  global
        .offset:         32
        .size:           8
        .value_kind:     global_buffer
    .group_segment_fixed_size: 4096
    .kernarg_segment_align: 8
    .kernarg_segment_size: 40
    .language:       OpenCL C
    .language_version:
      - 2
      - 0
    .max_flat_workgroup_size: 1024
    .name:           _ZN9rocsparseL18kernel_nrminf_diffILj1024EfEEvmPKT0_S3_PNS_15floating_traitsIS1_E6data_tEPKS6_
    .private_segment_fixed_size: 0
    .sgpr_count:     20
    .sgpr_spill_count: 0
    .symbol:         _ZN9rocsparseL18kernel_nrminf_diffILj1024EfEEvmPKT0_S3_PNS_15floating_traitsIS1_E6data_tEPKS6_.kd
    .uniform_work_group_size: 1
    .uses_dynamic_stack: false
    .vgpr_count:     8
    .vgpr_spill_count: 0
    .wavefront_size: 64
  - .agpr_count:     0
    .args:
      - .offset:         0
        .size:           8
        .value_kind:     by_value
      - .actual_access:  read_only
        .address_space:  global
        .offset:         8
        .size:           8
        .value_kind:     global_buffer
      - .address_space:  global
        .offset:         16
        .size:           8
        .value_kind:     global_buffer
      - .actual_access:  read_only
        .address_space:  global
        .offset:         24
        .size:           8
        .value_kind:     global_buffer
    .group_segment_fixed_size: 4096
    .kernarg_segment_align: 8
    .kernarg_segment_size: 32
    .language:       OpenCL C
    .language_version:
      - 2
      - 0
    .max_flat_workgroup_size: 1024
    .name:           _ZN9rocsparseL13kernel_nrminfILj1024EfEEvmPKT0_PNS_15floating_traitsIS1_E6data_tEPKS6_
    .private_segment_fixed_size: 0
    .sgpr_count:     20
    .sgpr_spill_count: 0
    .symbol:         _ZN9rocsparseL13kernel_nrminfILj1024EfEEvmPKT0_PNS_15floating_traitsIS1_E6data_tEPKS6_.kd
    .uniform_work_group_size: 1
    .uses_dynamic_stack: false
    .vgpr_count:     8
    .vgpr_spill_count: 0
    .wavefront_size: 64
  - .agpr_count:     0
    .args:
      - .offset:         0
        .size:           8
        .value_kind:     by_value
      - .actual_access:  read_only
        .address_space:  global
        .offset:         8
        .size:           8
        .value_kind:     global_buffer
      - .actual_access:  read_only
        .address_space:  global
        .offset:         16
        .size:           8
        .value_kind:     global_buffer
      - .address_space:  global
        .offset:         24
        .size:           8
        .value_kind:     global_buffer
      - .actual_access:  read_only
        .address_space:  global
        .offset:         32
        .size:           8
        .value_kind:     global_buffer
    .group_segment_fixed_size: 8192
    .kernarg_segment_align: 8
    .kernarg_segment_size: 40
    .language:       OpenCL C
    .language_version:
      - 2
      - 0
    .max_flat_workgroup_size: 1024
    .name:           _ZN9rocsparseL18kernel_nrminf_diffILj1024EdEEvmPKT0_S3_PNS_15floating_traitsIS1_E6data_tEPKS6_
    .private_segment_fixed_size: 0
    .sgpr_count:     20
    .sgpr_spill_count: 0
    .symbol:         _ZN9rocsparseL18kernel_nrminf_diffILj1024EdEEvmPKT0_S3_PNS_15floating_traitsIS1_E6data_tEPKS6_.kd
    .uniform_work_group_size: 1
    .uses_dynamic_stack: false
    .vgpr_count:     14
    .vgpr_spill_count: 0
    .wavefront_size: 64
  - .agpr_count:     0
    .args:
      - .offset:         0
        .size:           8
        .value_kind:     by_value
      - .actual_access:  read_only
        .address_space:  global
        .offset:         8
        .size:           8
        .value_kind:     global_buffer
      - .address_space:  global
        .offset:         16
        .size:           8
        .value_kind:     global_buffer
      - .actual_access:  read_only
        .address_space:  global
        .offset:         24
        .size:           8
        .value_kind:     global_buffer
    .group_segment_fixed_size: 8192
    .kernarg_segment_align: 8
    .kernarg_segment_size: 32
    .language:       OpenCL C
    .language_version:
      - 2
      - 0
    .max_flat_workgroup_size: 1024
    .name:           _ZN9rocsparseL13kernel_nrminfILj1024EdEEvmPKT0_PNS_15floating_traitsIS1_E6data_tEPKS6_
    .private_segment_fixed_size: 0
    .sgpr_count:     20
    .sgpr_spill_count: 0
    .symbol:         _ZN9rocsparseL13kernel_nrminfILj1024EdEEvmPKT0_PNS_15floating_traitsIS1_E6data_tEPKS6_.kd
    .uniform_work_group_size: 1
    .uses_dynamic_stack: false
    .vgpr_count:     14
    .vgpr_spill_count: 0
    .wavefront_size: 64
  - .agpr_count:     0
    .args:
      - .offset:         0
        .size:           8
        .value_kind:     by_value
      - .actual_access:  read_only
        .address_space:  global
        .offset:         8
        .size:           8
        .value_kind:     global_buffer
      - .actual_access:  read_only
        .address_space:  global
        .offset:         16
        .size:           8
        .value_kind:     global_buffer
      - .address_space:  global
        .offset:         24
        .size:           8
        .value_kind:     global_buffer
      - .actual_access:  read_only
        .address_space:  global
        .offset:         32
        .size:           8
        .value_kind:     global_buffer
    .group_segment_fixed_size: 4096
    .kernarg_segment_align: 8
    .kernarg_segment_size: 40
    .language:       OpenCL C
    .language_version:
      - 2
      - 0
    .max_flat_workgroup_size: 1024
    .name:           _ZN9rocsparseL18kernel_nrminf_diffILj1024E21rocsparse_complex_numIfEEEvmPKT0_S5_PNS_15floating_traitsIS3_E6data_tEPKS8_
    .private_segment_fixed_size: 0
    .sgpr_count:     20
    .sgpr_spill_count: 0
    .symbol:         _ZN9rocsparseL18kernel_nrminf_diffILj1024E21rocsparse_complex_numIfEEEvmPKT0_S5_PNS_15floating_traitsIS3_E6data_tEPKS8_.kd
    .uniform_work_group_size: 1
    .uses_dynamic_stack: false
    .vgpr_count:     10
    .vgpr_spill_count: 0
    .wavefront_size: 64
  - .agpr_count:     0
    .args:
      - .offset:         0
        .size:           8
        .value_kind:     by_value
      - .actual_access:  read_only
        .address_space:  global
        .offset:         8
        .size:           8
        .value_kind:     global_buffer
      - .address_space:  global
        .offset:         16
        .size:           8
        .value_kind:     global_buffer
      - .actual_access:  read_only
        .address_space:  global
        .offset:         24
        .size:           8
        .value_kind:     global_buffer
    .group_segment_fixed_size: 4096
    .kernarg_segment_align: 8
    .kernarg_segment_size: 32
    .language:       OpenCL C
    .language_version:
      - 2
      - 0
    .max_flat_workgroup_size: 1024
    .name:           _ZN9rocsparseL13kernel_nrminfILj1024E21rocsparse_complex_numIfEEEvmPKT0_PNS_15floating_traitsIS3_E6data_tEPKS8_
    .private_segment_fixed_size: 0
    .sgpr_count:     20
    .sgpr_spill_count: 0
    .symbol:         _ZN9rocsparseL13kernel_nrminfILj1024E21rocsparse_complex_numIfEEEvmPKT0_PNS_15floating_traitsIS3_E6data_tEPKS8_.kd
    .uniform_work_group_size: 1
    .uses_dynamic_stack: false
    .vgpr_count:     8
    .vgpr_spill_count: 0
    .wavefront_size: 64
  - .agpr_count:     0
    .args:
      - .offset:         0
        .size:           8
        .value_kind:     by_value
      - .actual_access:  read_only
        .address_space:  global
        .offset:         8
        .size:           8
        .value_kind:     global_buffer
      - .actual_access:  read_only
        .address_space:  global
        .offset:         16
        .size:           8
        .value_kind:     global_buffer
      - .address_space:  global
        .offset:         24
        .size:           8
        .value_kind:     global_buffer
      - .actual_access:  read_only
        .address_space:  global
        .offset:         32
        .size:           8
        .value_kind:     global_buffer
    .group_segment_fixed_size: 8192
    .kernarg_segment_align: 8
    .kernarg_segment_size: 40
    .language:       OpenCL C
    .language_version:
      - 2
      - 0
    .max_flat_workgroup_size: 1024
    .name:           _ZN9rocsparseL18kernel_nrminf_diffILj1024E21rocsparse_complex_numIdEEEvmPKT0_S5_PNS_15floating_traitsIS3_E6data_tEPKS8_
    .private_segment_fixed_size: 0
    .sgpr_count:     20
    .sgpr_spill_count: 0
    .symbol:         _ZN9rocsparseL18kernel_nrminf_diffILj1024E21rocsparse_complex_numIdEEEvmPKT0_S5_PNS_15floating_traitsIS3_E6data_tEPKS8_.kd
    .uniform_work_group_size: 1
    .uses_dynamic_stack: false
    .vgpr_count:     14
    .vgpr_spill_count: 0
    .wavefront_size: 64
  - .agpr_count:     0
    .args:
      - .offset:         0
        .size:           8
        .value_kind:     by_value
      - .actual_access:  read_only
        .address_space:  global
        .offset:         8
        .size:           8
        .value_kind:     global_buffer
      - .address_space:  global
        .offset:         16
        .size:           8
        .value_kind:     global_buffer
      - .actual_access:  read_only
        .address_space:  global
        .offset:         24
        .size:           8
        .value_kind:     global_buffer
    .group_segment_fixed_size: 8192
    .kernarg_segment_align: 8
    .kernarg_segment_size: 32
    .language:       OpenCL C
    .language_version:
      - 2
      - 0
    .max_flat_workgroup_size: 1024
    .name:           _ZN9rocsparseL13kernel_nrminfILj1024E21rocsparse_complex_numIdEEEvmPKT0_PNS_15floating_traitsIS3_E6data_tEPKS8_
    .private_segment_fixed_size: 0
    .sgpr_count:     20
    .sgpr_spill_count: 0
    .symbol:         _ZN9rocsparseL13kernel_nrminfILj1024E21rocsparse_complex_numIdEEEvmPKT0_PNS_15floating_traitsIS3_E6data_tEPKS8_.kd
    .uniform_work_group_size: 1
    .uses_dynamic_stack: false
    .vgpr_count:     14
    .vgpr_spill_count: 0
    .wavefront_size: 64
  - .agpr_count:     0
    .args:
      - .offset:         0
        .size:           8
        .value_kind:     by_value
      - .actual_access:  read_only
        .address_space:  global
        .offset:         8
        .size:           8
        .value_kind:     global_buffer
      - .actual_access:  read_only
        .address_space:  global
        .offset:         16
        .size:           8
        .value_kind:     global_buffer
      - .address_space:  global
        .offset:         24
        .size:           8
        .value_kind:     global_buffer
      - .actual_access:  read_only
        .address_space:  global
        .offset:         32
        .size:           8
        .value_kind:     global_buffer
    .group_segment_fixed_size: 2048
    .kernarg_segment_align: 8
    .kernarg_segment_size: 40
    .language:       OpenCL C
    .language_version:
      - 2
      - 0
    .max_flat_workgroup_size: 512
    .name:           _ZN9rocsparseL18kernel_nrminf_diffILj512EfEEvmPKT0_S3_PNS_15floating_traitsIS1_E6data_tEPKS6_
    .private_segment_fixed_size: 0
    .sgpr_count:     20
    .sgpr_spill_count: 0
    .symbol:         _ZN9rocsparseL18kernel_nrminf_diffILj512EfEEvmPKT0_S3_PNS_15floating_traitsIS1_E6data_tEPKS6_.kd
    .uniform_work_group_size: 1
    .uses_dynamic_stack: false
    .vgpr_count:     8
    .vgpr_spill_count: 0
    .wavefront_size: 64
  - .agpr_count:     0
    .args:
      - .offset:         0
        .size:           8
        .value_kind:     by_value
      - .actual_access:  read_only
        .address_space:  global
        .offset:         8
        .size:           8
        .value_kind:     global_buffer
      - .address_space:  global
        .offset:         16
        .size:           8
        .value_kind:     global_buffer
      - .actual_access:  read_only
        .address_space:  global
        .offset:         24
        .size:           8
        .value_kind:     global_buffer
    .group_segment_fixed_size: 2048
    .kernarg_segment_align: 8
    .kernarg_segment_size: 32
    .language:       OpenCL C
    .language_version:
      - 2
      - 0
    .max_flat_workgroup_size: 512
    .name:           _ZN9rocsparseL13kernel_nrminfILj512EfEEvmPKT0_PNS_15floating_traitsIS1_E6data_tEPKS6_
    .private_segment_fixed_size: 0
    .sgpr_count:     20
    .sgpr_spill_count: 0
    .symbol:         _ZN9rocsparseL13kernel_nrminfILj512EfEEvmPKT0_PNS_15floating_traitsIS1_E6data_tEPKS6_.kd
    .uniform_work_group_size: 1
    .uses_dynamic_stack: false
    .vgpr_count:     8
    .vgpr_spill_count: 0
    .wavefront_size: 64
  - .agpr_count:     0
    .args:
      - .offset:         0
        .size:           8
        .value_kind:     by_value
      - .actual_access:  read_only
        .address_space:  global
        .offset:         8
        .size:           8
        .value_kind:     global_buffer
      - .actual_access:  read_only
        .address_space:  global
        .offset:         16
        .size:           8
        .value_kind:     global_buffer
      - .address_space:  global
        .offset:         24
        .size:           8
        .value_kind:     global_buffer
      - .actual_access:  read_only
        .address_space:  global
        .offset:         32
        .size:           8
        .value_kind:     global_buffer
    .group_segment_fixed_size: 4096
    .kernarg_segment_align: 8
    .kernarg_segment_size: 40
    .language:       OpenCL C
    .language_version:
      - 2
      - 0
    .max_flat_workgroup_size: 512
    .name:           _ZN9rocsparseL18kernel_nrminf_diffILj512EdEEvmPKT0_S3_PNS_15floating_traitsIS1_E6data_tEPKS6_
    .private_segment_fixed_size: 0
    .sgpr_count:     20
    .sgpr_spill_count: 0
    .symbol:         _ZN9rocsparseL18kernel_nrminf_diffILj512EdEEvmPKT0_S3_PNS_15floating_traitsIS1_E6data_tEPKS6_.kd
    .uniform_work_group_size: 1
    .uses_dynamic_stack: false
    .vgpr_count:     14
    .vgpr_spill_count: 0
    .wavefront_size: 64
  - .agpr_count:     0
    .args:
      - .offset:         0
        .size:           8
        .value_kind:     by_value
      - .actual_access:  read_only
        .address_space:  global
        .offset:         8
        .size:           8
        .value_kind:     global_buffer
      - .address_space:  global
        .offset:         16
        .size:           8
        .value_kind:     global_buffer
      - .actual_access:  read_only
        .address_space:  global
        .offset:         24
        .size:           8
        .value_kind:     global_buffer
    .group_segment_fixed_size: 4096
    .kernarg_segment_align: 8
    .kernarg_segment_size: 32
    .language:       OpenCL C
    .language_version:
      - 2
      - 0
    .max_flat_workgroup_size: 512
    .name:           _ZN9rocsparseL13kernel_nrminfILj512EdEEvmPKT0_PNS_15floating_traitsIS1_E6data_tEPKS6_
    .private_segment_fixed_size: 0
    .sgpr_count:     20
    .sgpr_spill_count: 0
    .symbol:         _ZN9rocsparseL13kernel_nrminfILj512EdEEvmPKT0_PNS_15floating_traitsIS1_E6data_tEPKS6_.kd
    .uniform_work_group_size: 1
    .uses_dynamic_stack: false
    .vgpr_count:     14
    .vgpr_spill_count: 0
    .wavefront_size: 64
  - .agpr_count:     0
    .args:
      - .offset:         0
        .size:           8
        .value_kind:     by_value
      - .actual_access:  read_only
        .address_space:  global
        .offset:         8
        .size:           8
        .value_kind:     global_buffer
      - .actual_access:  read_only
        .address_space:  global
        .offset:         16
        .size:           8
        .value_kind:     global_buffer
      - .address_space:  global
        .offset:         24
        .size:           8
        .value_kind:     global_buffer
      - .actual_access:  read_only
        .address_space:  global
        .offset:         32
        .size:           8
        .value_kind:     global_buffer
    .group_segment_fixed_size: 2048
    .kernarg_segment_align: 8
    .kernarg_segment_size: 40
    .language:       OpenCL C
    .language_version:
      - 2
      - 0
    .max_flat_workgroup_size: 512
    .name:           _ZN9rocsparseL18kernel_nrminf_diffILj512E21rocsparse_complex_numIfEEEvmPKT0_S5_PNS_15floating_traitsIS3_E6data_tEPKS8_
    .private_segment_fixed_size: 0
    .sgpr_count:     20
    .sgpr_spill_count: 0
    .symbol:         _ZN9rocsparseL18kernel_nrminf_diffILj512E21rocsparse_complex_numIfEEEvmPKT0_S5_PNS_15floating_traitsIS3_E6data_tEPKS8_.kd
    .uniform_work_group_size: 1
    .uses_dynamic_stack: false
    .vgpr_count:     10
    .vgpr_spill_count: 0
    .wavefront_size: 64
  - .agpr_count:     0
    .args:
      - .offset:         0
        .size:           8
        .value_kind:     by_value
      - .actual_access:  read_only
        .address_space:  global
        .offset:         8
        .size:           8
        .value_kind:     global_buffer
      - .address_space:  global
        .offset:         16
        .size:           8
        .value_kind:     global_buffer
      - .actual_access:  read_only
        .address_space:  global
        .offset:         24
        .size:           8
        .value_kind:     global_buffer
    .group_segment_fixed_size: 2048
    .kernarg_segment_align: 8
    .kernarg_segment_size: 32
    .language:       OpenCL C
    .language_version:
      - 2
      - 0
    .max_flat_workgroup_size: 512
    .name:           _ZN9rocsparseL13kernel_nrminfILj512E21rocsparse_complex_numIfEEEvmPKT0_PNS_15floating_traitsIS3_E6data_tEPKS8_
    .private_segment_fixed_size: 0
    .sgpr_count:     20
    .sgpr_spill_count: 0
    .symbol:         _ZN9rocsparseL13kernel_nrminfILj512E21rocsparse_complex_numIfEEEvmPKT0_PNS_15floating_traitsIS3_E6data_tEPKS8_.kd
    .uniform_work_group_size: 1
    .uses_dynamic_stack: false
    .vgpr_count:     8
    .vgpr_spill_count: 0
    .wavefront_size: 64
  - .agpr_count:     0
    .args:
      - .offset:         0
        .size:           8
        .value_kind:     by_value
      - .actual_access:  read_only
        .address_space:  global
        .offset:         8
        .size:           8
        .value_kind:     global_buffer
      - .actual_access:  read_only
        .address_space:  global
        .offset:         16
        .size:           8
        .value_kind:     global_buffer
      - .address_space:  global
        .offset:         24
        .size:           8
        .value_kind:     global_buffer
      - .actual_access:  read_only
        .address_space:  global
        .offset:         32
        .size:           8
        .value_kind:     global_buffer
    .group_segment_fixed_size: 4096
    .kernarg_segment_align: 8
    .kernarg_segment_size: 40
    .language:       OpenCL C
    .language_version:
      - 2
      - 0
    .max_flat_workgroup_size: 512
    .name:           _ZN9rocsparseL18kernel_nrminf_diffILj512E21rocsparse_complex_numIdEEEvmPKT0_S5_PNS_15floating_traitsIS3_E6data_tEPKS8_
    .private_segment_fixed_size: 0
    .sgpr_count:     20
    .sgpr_spill_count: 0
    .symbol:         _ZN9rocsparseL18kernel_nrminf_diffILj512E21rocsparse_complex_numIdEEEvmPKT0_S5_PNS_15floating_traitsIS3_E6data_tEPKS8_.kd
    .uniform_work_group_size: 1
    .uses_dynamic_stack: false
    .vgpr_count:     14
    .vgpr_spill_count: 0
    .wavefront_size: 64
  - .agpr_count:     0
    .args:
      - .offset:         0
        .size:           8
        .value_kind:     by_value
      - .actual_access:  read_only
        .address_space:  global
        .offset:         8
        .size:           8
        .value_kind:     global_buffer
      - .address_space:  global
        .offset:         16
        .size:           8
        .value_kind:     global_buffer
      - .actual_access:  read_only
        .address_space:  global
        .offset:         24
        .size:           8
        .value_kind:     global_buffer
    .group_segment_fixed_size: 4096
    .kernarg_segment_align: 8
    .kernarg_segment_size: 32
    .language:       OpenCL C
    .language_version:
      - 2
      - 0
    .max_flat_workgroup_size: 512
    .name:           _ZN9rocsparseL13kernel_nrminfILj512E21rocsparse_complex_numIdEEEvmPKT0_PNS_15floating_traitsIS3_E6data_tEPKS8_
    .private_segment_fixed_size: 0
    .sgpr_count:     20
    .sgpr_spill_count: 0
    .symbol:         _ZN9rocsparseL13kernel_nrminfILj512E21rocsparse_complex_numIdEEEvmPKT0_PNS_15floating_traitsIS3_E6data_tEPKS8_.kd
    .uniform_work_group_size: 1
    .uses_dynamic_stack: false
    .vgpr_count:     14
    .vgpr_spill_count: 0
    .wavefront_size: 64
  - .agpr_count:     0
    .args:
      - .offset:         0
        .size:           8
        .value_kind:     by_value
      - .actual_access:  read_only
        .address_space:  global
        .offset:         8
        .size:           8
        .value_kind:     global_buffer
      - .actual_access:  read_only
        .address_space:  global
        .offset:         16
        .size:           8
        .value_kind:     global_buffer
      - .address_space:  global
        .offset:         24
        .size:           8
        .value_kind:     global_buffer
      - .actual_access:  read_only
        .address_space:  global
        .offset:         32
        .size:           8
        .value_kind:     global_buffer
    .group_segment_fixed_size: 1024
    .kernarg_segment_align: 8
    .kernarg_segment_size: 40
    .language:       OpenCL C
    .language_version:
      - 2
      - 0
    .max_flat_workgroup_size: 256
    .name:           _ZN9rocsparseL18kernel_nrminf_diffILj256EfEEvmPKT0_S3_PNS_15floating_traitsIS1_E6data_tEPKS6_
    .private_segment_fixed_size: 0
    .sgpr_count:     20
    .sgpr_spill_count: 0
    .symbol:         _ZN9rocsparseL18kernel_nrminf_diffILj256EfEEvmPKT0_S3_PNS_15floating_traitsIS1_E6data_tEPKS6_.kd
    .uniform_work_group_size: 1
    .uses_dynamic_stack: false
    .vgpr_count:     8
    .vgpr_spill_count: 0
    .wavefront_size: 64
  - .agpr_count:     0
    .args:
      - .offset:         0
        .size:           8
        .value_kind:     by_value
      - .actual_access:  read_only
        .address_space:  global
        .offset:         8
        .size:           8
        .value_kind:     global_buffer
      - .address_space:  global
        .offset:         16
        .size:           8
        .value_kind:     global_buffer
      - .actual_access:  read_only
        .address_space:  global
        .offset:         24
        .size:           8
        .value_kind:     global_buffer
    .group_segment_fixed_size: 1024
    .kernarg_segment_align: 8
    .kernarg_segment_size: 32
    .language:       OpenCL C
    .language_version:
      - 2
      - 0
    .max_flat_workgroup_size: 256
    .name:           _ZN9rocsparseL13kernel_nrminfILj256EfEEvmPKT0_PNS_15floating_traitsIS1_E6data_tEPKS6_
    .private_segment_fixed_size: 0
    .sgpr_count:     20
    .sgpr_spill_count: 0
    .symbol:         _ZN9rocsparseL13kernel_nrminfILj256EfEEvmPKT0_PNS_15floating_traitsIS1_E6data_tEPKS6_.kd
    .uniform_work_group_size: 1
    .uses_dynamic_stack: false
    .vgpr_count:     8
    .vgpr_spill_count: 0
    .wavefront_size: 64
  - .agpr_count:     0
    .args:
      - .offset:         0
        .size:           8
        .value_kind:     by_value
      - .actual_access:  read_only
        .address_space:  global
        .offset:         8
        .size:           8
        .value_kind:     global_buffer
      - .actual_access:  read_only
        .address_space:  global
        .offset:         16
        .size:           8
        .value_kind:     global_buffer
      - .address_space:  global
        .offset:         24
        .size:           8
        .value_kind:     global_buffer
      - .actual_access:  read_only
        .address_space:  global
        .offset:         32
        .size:           8
        .value_kind:     global_buffer
    .group_segment_fixed_size: 2048
    .kernarg_segment_align: 8
    .kernarg_segment_size: 40
    .language:       OpenCL C
    .language_version:
      - 2
      - 0
    .max_flat_workgroup_size: 256
    .name:           _ZN9rocsparseL18kernel_nrminf_diffILj256EdEEvmPKT0_S3_PNS_15floating_traitsIS1_E6data_tEPKS6_
    .private_segment_fixed_size: 0
    .sgpr_count:     20
    .sgpr_spill_count: 0
    .symbol:         _ZN9rocsparseL18kernel_nrminf_diffILj256EdEEvmPKT0_S3_PNS_15floating_traitsIS1_E6data_tEPKS6_.kd
    .uniform_work_group_size: 1
    .uses_dynamic_stack: false
    .vgpr_count:     14
    .vgpr_spill_count: 0
    .wavefront_size: 64
  - .agpr_count:     0
    .args:
      - .offset:         0
        .size:           8
        .value_kind:     by_value
      - .actual_access:  read_only
        .address_space:  global
        .offset:         8
        .size:           8
        .value_kind:     global_buffer
      - .address_space:  global
        .offset:         16
        .size:           8
        .value_kind:     global_buffer
      - .actual_access:  read_only
        .address_space:  global
        .offset:         24
        .size:           8
        .value_kind:     global_buffer
    .group_segment_fixed_size: 2048
    .kernarg_segment_align: 8
    .kernarg_segment_size: 32
    .language:       OpenCL C
    .language_version:
      - 2
      - 0
    .max_flat_workgroup_size: 256
    .name:           _ZN9rocsparseL13kernel_nrminfILj256EdEEvmPKT0_PNS_15floating_traitsIS1_E6data_tEPKS6_
    .private_segment_fixed_size: 0
    .sgpr_count:     20
    .sgpr_spill_count: 0
    .symbol:         _ZN9rocsparseL13kernel_nrminfILj256EdEEvmPKT0_PNS_15floating_traitsIS1_E6data_tEPKS6_.kd
    .uniform_work_group_size: 1
    .uses_dynamic_stack: false
    .vgpr_count:     14
    .vgpr_spill_count: 0
    .wavefront_size: 64
  - .agpr_count:     0
    .args:
      - .offset:         0
        .size:           8
        .value_kind:     by_value
      - .actual_access:  read_only
        .address_space:  global
        .offset:         8
        .size:           8
        .value_kind:     global_buffer
      - .actual_access:  read_only
        .address_space:  global
        .offset:         16
        .size:           8
        .value_kind:     global_buffer
      - .address_space:  global
        .offset:         24
        .size:           8
        .value_kind:     global_buffer
      - .actual_access:  read_only
        .address_space:  global
        .offset:         32
        .size:           8
        .value_kind:     global_buffer
    .group_segment_fixed_size: 1024
    .kernarg_segment_align: 8
    .kernarg_segment_size: 40
    .language:       OpenCL C
    .language_version:
      - 2
      - 0
    .max_flat_workgroup_size: 256
    .name:           _ZN9rocsparseL18kernel_nrminf_diffILj256E21rocsparse_complex_numIfEEEvmPKT0_S5_PNS_15floating_traitsIS3_E6data_tEPKS8_
    .private_segment_fixed_size: 0
    .sgpr_count:     20
    .sgpr_spill_count: 0
    .symbol:         _ZN9rocsparseL18kernel_nrminf_diffILj256E21rocsparse_complex_numIfEEEvmPKT0_S5_PNS_15floating_traitsIS3_E6data_tEPKS8_.kd
    .uniform_work_group_size: 1
    .uses_dynamic_stack: false
    .vgpr_count:     10
    .vgpr_spill_count: 0
    .wavefront_size: 64
  - .agpr_count:     0
    .args:
      - .offset:         0
        .size:           8
        .value_kind:     by_value
      - .actual_access:  read_only
        .address_space:  global
        .offset:         8
        .size:           8
        .value_kind:     global_buffer
      - .address_space:  global
        .offset:         16
        .size:           8
        .value_kind:     global_buffer
      - .actual_access:  read_only
        .address_space:  global
        .offset:         24
        .size:           8
        .value_kind:     global_buffer
    .group_segment_fixed_size: 1024
    .kernarg_segment_align: 8
    .kernarg_segment_size: 32
    .language:       OpenCL C
    .language_version:
      - 2
      - 0
    .max_flat_workgroup_size: 256
    .name:           _ZN9rocsparseL13kernel_nrminfILj256E21rocsparse_complex_numIfEEEvmPKT0_PNS_15floating_traitsIS3_E6data_tEPKS8_
    .private_segment_fixed_size: 0
    .sgpr_count:     20
    .sgpr_spill_count: 0
    .symbol:         _ZN9rocsparseL13kernel_nrminfILj256E21rocsparse_complex_numIfEEEvmPKT0_PNS_15floating_traitsIS3_E6data_tEPKS8_.kd
    .uniform_work_group_size: 1
    .uses_dynamic_stack: false
    .vgpr_count:     8
    .vgpr_spill_count: 0
    .wavefront_size: 64
  - .agpr_count:     0
    .args:
      - .offset:         0
        .size:           8
        .value_kind:     by_value
      - .actual_access:  read_only
        .address_space:  global
        .offset:         8
        .size:           8
        .value_kind:     global_buffer
      - .actual_access:  read_only
        .address_space:  global
        .offset:         16
        .size:           8
        .value_kind:     global_buffer
      - .address_space:  global
        .offset:         24
        .size:           8
        .value_kind:     global_buffer
      - .actual_access:  read_only
        .address_space:  global
        .offset:         32
        .size:           8
        .value_kind:     global_buffer
    .group_segment_fixed_size: 2048
    .kernarg_segment_align: 8
    .kernarg_segment_size: 40
    .language:       OpenCL C
    .language_version:
      - 2
      - 0
    .max_flat_workgroup_size: 256
    .name:           _ZN9rocsparseL18kernel_nrminf_diffILj256E21rocsparse_complex_numIdEEEvmPKT0_S5_PNS_15floating_traitsIS3_E6data_tEPKS8_
    .private_segment_fixed_size: 0
    .sgpr_count:     20
    .sgpr_spill_count: 0
    .symbol:         _ZN9rocsparseL18kernel_nrminf_diffILj256E21rocsparse_complex_numIdEEEvmPKT0_S5_PNS_15floating_traitsIS3_E6data_tEPKS8_.kd
    .uniform_work_group_size: 1
    .uses_dynamic_stack: false
    .vgpr_count:     14
    .vgpr_spill_count: 0
    .wavefront_size: 64
  - .agpr_count:     0
    .args:
      - .offset:         0
        .size:           8
        .value_kind:     by_value
      - .actual_access:  read_only
        .address_space:  global
        .offset:         8
        .size:           8
        .value_kind:     global_buffer
      - .address_space:  global
        .offset:         16
        .size:           8
        .value_kind:     global_buffer
      - .actual_access:  read_only
        .address_space:  global
        .offset:         24
        .size:           8
        .value_kind:     global_buffer
    .group_segment_fixed_size: 2048
    .kernarg_segment_align: 8
    .kernarg_segment_size: 32
    .language:       OpenCL C
    .language_version:
      - 2
      - 0
    .max_flat_workgroup_size: 256
    .name:           _ZN9rocsparseL13kernel_nrminfILj256E21rocsparse_complex_numIdEEEvmPKT0_PNS_15floating_traitsIS3_E6data_tEPKS8_
    .private_segment_fixed_size: 0
    .sgpr_count:     20
    .sgpr_spill_count: 0
    .symbol:         _ZN9rocsparseL13kernel_nrminfILj256E21rocsparse_complex_numIdEEEvmPKT0_PNS_15floating_traitsIS3_E6data_tEPKS8_.kd
    .uniform_work_group_size: 1
    .uses_dynamic_stack: false
    .vgpr_count:     14
    .vgpr_spill_count: 0
    .wavefront_size: 64
amdhsa.target:   amdgcn-amd-amdhsa--gfx90a
amdhsa.version:
  - 1
  - 2
...

	.end_amdgpu_metadata
